;; amdgpu-corpus repo=ROCm/rocFFT kind=compiled arch=gfx1100 opt=O3
	.text
	.amdgcn_target "amdgcn-amd-amdhsa--gfx1100"
	.amdhsa_code_object_version 6
	.protected	bluestein_single_fwd_len2016_dim1_dp_op_CI_CI ; -- Begin function bluestein_single_fwd_len2016_dim1_dp_op_CI_CI
	.globl	bluestein_single_fwd_len2016_dim1_dp_op_CI_CI
	.p2align	8
	.type	bluestein_single_fwd_len2016_dim1_dp_op_CI_CI,@function
bluestein_single_fwd_len2016_dim1_dp_op_CI_CI: ; @bluestein_single_fwd_len2016_dim1_dp_op_CI_CI
; %bb.0:
	s_load_b128 s[16:19], s[0:1], 0x28
	v_mul_u32_u24_e32 v1, 0x24a, v0
	v_mov_b32_e32 v12, 0
	s_mov_b32 s2, exec_lo
	s_delay_alu instid0(VALU_DEP_2) | instskip(NEXT) | instid1(VALU_DEP_1)
	v_lshrrev_b32_e32 v1, 16, v1
	v_lshl_add_u32 v11, s15, 1, v1
	s_waitcnt lgkmcnt(0)
	s_delay_alu instid0(VALU_DEP_1)
	v_cmpx_gt_u64_e64 s[16:17], v[11:12]
	s_cbranch_execz .LBB0_10
; %bb.1:
	s_clause 0x1
	s_load_b128 s[4:7], s[0:1], 0x18
	s_load_b128 s[8:11], s[0:1], 0x0
	v_mul_lo_u16 v2, 0x70, v1
                                        ; implicit-def: $vgpr252_vgpr253
	s_delay_alu instid0(VALU_DEP_1) | instskip(NEXT) | instid1(VALU_DEP_1)
	v_sub_nc_u16 v4, v0, v2
	v_and_b32_e32 v140, 0xffff, v4
	s_waitcnt lgkmcnt(0)
	s_load_b128 s[12:15], s[4:5], 0x0
	s_waitcnt lgkmcnt(0)
	v_mad_u64_u32 v[2:3], null, s14, v11, 0
	v_mad_u64_u32 v[5:6], null, s12, v140, 0
	s_mul_hi_u32 s4, s12, 0x3f00
	s_mul_i32 s3, s12, 0x3f00
	s_mul_i32 s14, s13, 0xffffc800
	;; [unrolled: 1-line block ×3, first 2 shown]
	s_delay_alu instid0(VALU_DEP_1) | instskip(SKIP_2) | instid1(VALU_DEP_3)
	v_dual_mov_b32 v0, v3 :: v_dual_mov_b32 v3, v6
	v_or_b32_e32 v13, 0x700, v140
	v_dual_mov_b32 v6, v11 :: v_dual_lshlrev_b32 v85, 4, v140
	v_mad_u64_u32 v[9:10], null, s15, v11, v[0:1]
	s_delay_alu instid0(VALU_DEP_3)
	v_mad_u64_u32 v[7:8], null, s12, v13, 0
	v_mad_u64_u32 v[10:11], null, s13, v140, v[3:4]
	v_or_b32_e32 v100, 0x380, v140
	global_load_b128 v[45:48], v85, s[8:9]
	v_dual_mov_b32 v3, v9 :: v_dual_mov_b32 v112, v140
	v_mov_b32_e32 v0, v8
	scratch_store_b64 off, v[6:7], off      ; 8-byte Folded Spill
	v_mov_b32_e32 v6, v10
	v_lshlrev_b64 v[2:3], 4, v[2:3]
	v_mad_u64_u32 v[11:12], null, s13, v13, v[0:1]
	s_delay_alu instid0(VALU_DEP_3) | instskip(SKIP_1) | instid1(VALU_DEP_4)
	v_lshlrev_b64 v[5:6], 4, v[5:6]
	v_lshlrev_b32_e32 v0, 4, v13
	v_add_co_u32 v15, vcc_lo, s18, v2
	v_add_co_ci_u32_e32 v16, vcc_lo, s19, v3, vcc_lo
	v_mov_b32_e32 v8, v11
	s_delay_alu instid0(VALU_DEP_3)
	v_add_co_u32 v17, vcc_lo, v15, v5
	s_clause 0x1
	scratch_store_b32 off, v13, off offset:8
	scratch_store_b32 off, v0, off offset:412
	v_lshlrev_b64 v[2:3], 4, v[7:8]
	v_mad_u64_u32 v[13:14], null, s12, v100, 0
	v_add_co_ci_u32_e32 v18, vcc_lo, v16, v6, vcc_lo
	s_delay_alu instid0(VALU_DEP_3) | instskip(NEXT) | instid1(VALU_DEP_4)
	v_add_co_u32 v2, vcc_lo, v15, v2
	v_add_co_ci_u32_e32 v3, vcc_lo, v16, v3, vcc_lo
	global_load_b128 v[5:8], v[17:18], off
	global_load_b128 v[37:40], v0, s[8:9]
	global_load_b128 v[9:12], v[2:3], off
	v_mov_b32_e32 v0, v14
	s_delay_alu instid0(VALU_DEP_1) | instskip(SKIP_3) | instid1(VALU_DEP_1)
	v_mad_u64_u32 v[2:3], null, s13, v100, v[0:1]
	v_lshlrev_b32_e32 v0, 4, v100
	scratch_store_b32 off, v0, off offset:408 ; 4-byte Folded Spill
	v_mov_b32_e32 v14, v2
	v_lshlrev_b64 v[2:3], 4, v[13:14]
	s_delay_alu instid0(VALU_DEP_1) | instskip(NEXT) | instid1(VALU_DEP_2)
	v_add_co_u32 v2, vcc_lo, v15, v2
	v_add_co_ci_u32_e32 v3, vcc_lo, v16, v3, vcc_lo
	global_load_b128 v[41:44], v0, s[8:9]
	global_load_b128 v[13:16], v[2:3], off
	v_add_co_u32 v0, s2, s8, v85
	s_delay_alu instid0(VALU_DEP_1) | instskip(SKIP_1) | instid1(VALU_DEP_2)
	v_add_co_ci_u32_e64 v61, null, s9, 0, s2
	s_mul_i32 s2, s13, 0x3f00
	v_add_co_u32 v2, vcc_lo, 0x3000, v0
	s_delay_alu instid0(VALU_DEP_2)
	v_add_co_ci_u32_e32 v3, vcc_lo, 0, v61, vcc_lo
	s_add_i32 s2, s4, s2
	v_add_co_u32 v21, vcc_lo, v17, s3
	v_add_co_ci_u32_e32 v22, vcc_lo, s2, v18, vcc_lo
	global_load_b128 v[49:52], v[2:3], off offset:3840
	global_load_b128 v[17:20], v[21:22], off
	s_mul_hi_u32 s4, s12, 0xffffc800
	v_add_co_u32 v25, vcc_lo, v21, s5
	s_sub_i32 s4, s4, s12
	s_delay_alu instid0(SALU_CYCLE_1) | instskip(NEXT) | instid1(SALU_CYCLE_1)
	s_add_i32 s4, s4, s14
	v_add_co_ci_u32_e32 v26, vcc_lo, s4, v22, vcc_lo
	global_load_b128 v[53:56], v85, s[8:9] offset:1792
	global_load_b128 v[21:24], v[25:26], off
	v_add_co_u32 v35, vcc_lo, 0x7000, v0
	v_add_co_ci_u32_e32 v36, vcc_lo, 0, v61, vcc_lo
	s_clause 0x1
	global_load_b128 v[79:82], v[2:3], off offset:256
	global_load_b128 v[86:89], v[35:36], off offset:1792
	s_waitcnt vmcnt(11)
	scratch_store_b128 off, v[45:48], off offset:48 ; 16-byte Folded Spill
	s_waitcnt vmcnt(10)
	v_mul_f64 v[27:28], v[7:8], v[47:48]
	v_mul_f64 v[29:30], v[5:6], v[47:48]
	s_waitcnt vmcnt(8)
	v_mul_f64 v[31:32], v[11:12], v[39:40]
	v_mul_f64 v[33:34], v[9:10], v[39:40]
	scratch_store_b128 off, v[37:40], off offset:16 ; 16-byte Folded Spill
	s_waitcnt vmcnt(7)
	scratch_store_b128 off, v[41:44], off offset:32 ; 16-byte Folded Spill
	v_fma_f64 v[5:6], v[5:6], v[45:46], v[27:28]
	s_waitcnt vmcnt(6)
	v_mul_f64 v[27:28], v[15:16], v[43:44]
	v_fma_f64 v[7:8], v[7:8], v[45:46], -v[29:30]
	v_mul_f64 v[29:30], v[13:14], v[43:44]
	v_fma_f64 v[9:10], v[9:10], v[37:38], v[31:32]
	v_fma_f64 v[11:12], v[11:12], v[37:38], -v[33:34]
	s_waitcnt vmcnt(5)
	scratch_store_b128 off, v[49:52], off offset:96 ; 16-byte Folded Spill
	s_waitcnt vmcnt(4)
	v_mul_f64 v[2:3], v[19:20], v[51:52]
	s_waitcnt vmcnt(3)
	scratch_store_b128 off, v[53:56], off offset:112 ; 16-byte Folded Spill
	s_waitcnt vmcnt(2)
	v_mul_f64 v[31:32], v[21:22], v[55:56]
	v_fma_f64 v[13:14], v[13:14], v[41:42], v[27:28]
	v_mul_f64 v[27:28], v[17:18], v[51:52]
	v_fma_f64 v[15:16], v[15:16], v[41:42], -v[29:30]
	v_add_co_u32 v29, vcc_lo, v25, s3
	v_add_co_ci_u32_e32 v30, vcc_lo, s2, v26, vcc_lo
	v_fma_f64 v[17:18], v[17:18], v[49:50], v[2:3]
	v_mul_f64 v[2:3], v[23:24], v[55:56]
	v_fma_f64 v[23:24], v[23:24], v[53:54], -v[31:32]
	v_fma_f64 v[19:20], v[19:20], v[49:50], -v[27:28]
	global_load_b128 v[25:28], v[29:30], off
	v_fma_f64 v[21:22], v[21:22], v[53:54], v[2:3]
	v_add_co_u32 v2, vcc_lo, 0x4000, v0
	v_add_co_ci_u32_e32 v3, vcc_lo, 0, v61, vcc_lo
	s_clause 0x1
	global_load_b128 v[33:36], v[2:3], off offset:1536
	global_load_b128 v[41:44], v[2:3], off offset:3328
	s_waitcnt vmcnt(1)
	v_mul_f64 v[2:3], v[27:28], v[35:36]
	v_mul_f64 v[31:32], v[25:26], v[35:36]
	scratch_store_b128 off, v[33:36], off offset:288 ; 16-byte Folded Spill
	v_fma_f64 v[25:26], v[25:26], v[33:34], v[2:3]
	v_add_co_u32 v2, vcc_lo, v29, s5
	v_add_co_ci_u32_e32 v3, vcc_lo, s4, v30, vcc_lo
	v_fma_f64 v[27:28], v[27:28], v[33:34], -v[31:32]
	global_load_b128 v[37:40], v85, s[8:9] offset:3584
	global_load_b128 v[29:32], v[2:3], off
	v_add_co_u32 v2, vcc_lo, v2, s3
	v_add_co_ci_u32_e32 v3, vcc_lo, s2, v3, vcc_lo
	s_waitcnt vmcnt(2)
	scratch_store_b128 off, v[41:44], off offset:192 ; 16-byte Folded Spill
	s_waitcnt vmcnt(1)
	scratch_store_b128 off, v[37:40], off offset:224 ; 16-byte Folded Spill
	s_waitcnt vmcnt(0)
	v_mul_f64 v[33:34], v[31:32], v[39:40]
	v_mul_f64 v[35:36], v[29:30], v[39:40]
	s_delay_alu instid0(VALU_DEP_2) | instskip(NEXT) | instid1(VALU_DEP_2)
	v_fma_f64 v[29:30], v[29:30], v[37:38], v[33:34]
	v_fma_f64 v[31:32], v[31:32], v[37:38], -v[35:36]
	global_load_b128 v[33:36], v[2:3], off
	v_add_co_u32 v2, vcc_lo, v2, s5
	v_add_co_ci_u32_e32 v3, vcc_lo, s4, v3, vcc_lo
	s_waitcnt vmcnt(0)
	v_mul_f64 v[37:38], v[35:36], v[43:44]
	v_mul_f64 v[39:40], v[33:34], v[43:44]
	s_delay_alu instid0(VALU_DEP_2) | instskip(SKIP_2) | instid1(VALU_DEP_4)
	v_fma_f64 v[33:34], v[33:34], v[41:42], v[37:38]
	v_add_co_u32 v37, vcc_lo, 0x1000, v0
	v_add_co_ci_u32_e32 v38, vcc_lo, 0, v61, vcc_lo
	v_fma_f64 v[35:36], v[35:36], v[41:42], -v[39:40]
	s_clause 0x1
	global_load_b128 v[45:48], v[37:38], off offset:1280
	global_load_b128 v[53:56], v[37:38], off offset:3072
	global_load_b128 v[37:40], v[2:3], off
	v_add_co_u32 v2, vcc_lo, v2, s3
	v_add_co_ci_u32_e32 v3, vcc_lo, s2, v3, vcc_lo
	s_waitcnt vmcnt(2)
	scratch_store_b128 off, v[45:48], off offset:256 ; 16-byte Folded Spill
	s_waitcnt vmcnt(0)
	v_mul_f64 v[41:42], v[39:40], v[47:48]
	v_mul_f64 v[43:44], v[37:38], v[47:48]
	s_delay_alu instid0(VALU_DEP_2) | instskip(SKIP_2) | instid1(VALU_DEP_4)
	v_fma_f64 v[37:38], v[37:38], v[45:46], v[41:42]
	v_add_co_u32 v41, vcc_lo, 0x5000, v0
	v_add_co_ci_u32_e32 v42, vcc_lo, 0, v61, vcc_lo
	v_fma_f64 v[39:40], v[39:40], v[45:46], -v[43:44]
	s_clause 0x1
	global_load_b128 v[49:52], v[41:42], off offset:1024
	global_load_b128 v[57:60], v[41:42], off offset:2816
	global_load_b128 v[41:44], v[2:3], off
	v_add_co_u32 v2, vcc_lo, v2, s5
	v_add_co_ci_u32_e32 v3, vcc_lo, s4, v3, vcc_lo
	scratch_store_b128 off, v[53:56], off offset:240 ; 16-byte Folded Spill
	s_waitcnt vmcnt(2)
	scratch_store_b128 off, v[49:52], off offset:272 ; 16-byte Folded Spill
	s_waitcnt vmcnt(1)
	;; [unrolled: 2-line block ×3, first 2 shown]
	v_mul_f64 v[45:46], v[43:44], v[51:52]
	v_mul_f64 v[47:48], v[41:42], v[51:52]
	s_delay_alu instid0(VALU_DEP_2) | instskip(NEXT) | instid1(VALU_DEP_2)
	v_fma_f64 v[41:42], v[41:42], v[49:50], v[45:46]
	v_fma_f64 v[43:44], v[43:44], v[49:50], -v[47:48]
	global_load_b128 v[45:48], v[2:3], off
	v_add_co_u32 v2, vcc_lo, v2, s3
	v_add_co_ci_u32_e32 v3, vcc_lo, s2, v3, vcc_lo
	s_waitcnt vmcnt(0)
	v_mul_f64 v[49:50], v[47:48], v[55:56]
	v_mul_f64 v[51:52], v[45:46], v[55:56]
	s_delay_alu instid0(VALU_DEP_2) | instskip(NEXT) | instid1(VALU_DEP_2)
	v_fma_f64 v[45:46], v[45:46], v[53:54], v[49:50]
	v_fma_f64 v[47:48], v[47:48], v[53:54], -v[51:52]
	global_load_b128 v[49:52], v[2:3], off
	v_add_co_u32 v2, vcc_lo, v2, s5
	v_add_co_ci_u32_e32 v3, vcc_lo, s4, v3, vcc_lo
	s_waitcnt vmcnt(0)
	v_mul_f64 v[53:54], v[51:52], v[59:60]
	v_mul_f64 v[55:56], v[49:50], v[59:60]
	s_delay_alu instid0(VALU_DEP_2) | instskip(SKIP_2) | instid1(VALU_DEP_4)
	v_fma_f64 v[49:50], v[49:50], v[57:58], v[53:54]
	v_add_co_u32 v53, vcc_lo, 0x2000, v0
	v_add_co_ci_u32_e32 v54, vcc_lo, 0, v61, vcc_lo
	v_fma_f64 v[51:52], v[51:52], v[57:58], -v[55:56]
	s_clause 0x1
	global_load_b128 v[62:65], v[53:54], off offset:768
	global_load_b128 v[69:72], v[53:54], off offset:2560
	global_load_b128 v[53:56], v[2:3], off
	v_add_co_u32 v2, vcc_lo, v2, s3
	v_add_co_ci_u32_e32 v3, vcc_lo, s2, v3, vcc_lo
	s_waitcnt vmcnt(2)
	scratch_store_b128 off, v[62:65], off offset:160 ; 16-byte Folded Spill
	s_waitcnt vmcnt(0)
	v_mul_f64 v[57:58], v[55:56], v[64:65]
	v_mul_f64 v[59:60], v[53:54], v[64:65]
	s_delay_alu instid0(VALU_DEP_2) | instskip(SKIP_2) | instid1(VALU_DEP_4)
	v_fma_f64 v[53:54], v[53:54], v[62:63], v[57:58]
	v_add_co_u32 v57, vcc_lo, 0x6000, v0
	v_add_co_ci_u32_e32 v58, vcc_lo, 0, v61, vcc_lo
	v_fma_f64 v[55:56], v[55:56], v[62:63], -v[59:60]
	s_clause 0x1
	global_load_b128 v[65:68], v[57:58], off offset:512
	global_load_b128 v[75:78], v[57:58], off offset:2304
	global_load_b128 v[57:60], v[2:3], off
	v_add_co_u32 v2, vcc_lo, v2, s5
	v_add_co_ci_u32_e32 v3, vcc_lo, s4, v3, vcc_lo
	s_clause 0x2
	scratch_store_b128 off, v[69:72], off offset:128
	scratch_store_b128 off, v[79:82], off offset:80
	;; [unrolled: 1-line block ×3, first 2 shown]
	s_waitcnt vmcnt(2)
	scratch_store_b128 off, v[65:68], off offset:208 ; 16-byte Folded Spill
	s_waitcnt vmcnt(1)
	scratch_store_b128 off, v[75:78], off offset:176 ; 16-byte Folded Spill
	s_waitcnt vmcnt(0)
	v_mul_f64 v[61:62], v[59:60], v[67:68]
	v_mul_f64 v[63:64], v[57:58], v[67:68]
	s_delay_alu instid0(VALU_DEP_2) | instskip(NEXT) | instid1(VALU_DEP_2)
	v_fma_f64 v[57:58], v[57:58], v[65:66], v[61:62]
	v_fma_f64 v[59:60], v[59:60], v[65:66], -v[63:64]
	global_load_b128 v[61:64], v[2:3], off
	v_add_co_u32 v2, vcc_lo, v2, s3
	v_add_co_ci_u32_e32 v3, vcc_lo, s2, v3, vcc_lo
	s_mov_b32 s2, 0xe8584caa
	s_mov_b32 s3, 0x3febb67a
	s_waitcnt vmcnt(0)
	v_mul_f64 v[65:66], v[63:64], v[71:72]
	v_mul_f64 v[67:68], v[61:62], v[71:72]
	s_delay_alu instid0(VALU_DEP_2) | instskip(NEXT) | instid1(VALU_DEP_2)
	v_fma_f64 v[61:62], v[61:62], v[69:70], v[65:66]
	v_fma_f64 v[63:64], v[63:64], v[69:70], -v[67:68]
	global_load_b128 v[69:72], v[2:3], off
	v_add_co_u32 v2, vcc_lo, v2, s5
	v_add_co_ci_u32_e32 v3, vcc_lo, s4, v3, vcc_lo
	s_waitcnt vmcnt(0)
	v_mul_f64 v[65:66], v[71:72], v[77:78]
	v_mul_f64 v[67:68], v[69:70], v[77:78]
	s_delay_alu instid0(VALU_DEP_2) | instskip(NEXT) | instid1(VALU_DEP_2)
	v_fma_f64 v[73:74], v[69:70], v[75:76], v[65:66]
	v_fma_f64 v[75:76], v[71:72], v[75:76], -v[67:68]
	global_load_b128 v[69:72], v[2:3], off
	s_waitcnt vmcnt(0)
	v_mul_f64 v[65:66], v[71:72], v[81:82]
	v_mul_f64 v[67:68], v[69:70], v[81:82]
	s_delay_alu instid0(VALU_DEP_2) | instskip(SKIP_1) | instid1(VALU_DEP_3)
	v_fma_f64 v[77:78], v[69:70], v[79:80], v[65:66]
	v_mad_u64_u32 v[65:66], null, 0x4600, s12, v[2:3]
	v_fma_f64 v[79:80], v[71:72], v[79:80], -v[67:68]
	s_mov_b32 s12, s2
	s_delay_alu instid0(VALU_DEP_2) | instskip(NEXT) | instid1(VALU_DEP_1)
	v_mov_b32_e32 v0, v66
	v_mad_u64_u32 v[2:3], null, 0x4600, s13, v[0:1]
	v_and_b32_e32 v0, 1, v1
	s_mov_b32 s13, 0xbfebb67a
	s_delay_alu instid0(VALU_DEP_1) | instskip(NEXT) | instid1(VALU_DEP_3)
	v_cmp_eq_u32_e32 vcc_lo, 1, v0
	v_mov_b32_e32 v66, v2
	v_cndmask_b32_e64 v0, 0, 0x7e0, vcc_lo
	global_load_b128 v[69:72], v[65:66], off
	v_cmp_gt_u16_e32 vcc_lo, 0x60, v4
	s_waitcnt vmcnt(0)
	v_mul_f64 v[2:3], v[71:72], v[88:89]
	v_mul_f64 v[65:66], v[69:70], v[88:89]
	s_delay_alu instid0(VALU_DEP_2) | instskip(NEXT) | instid1(VALU_DEP_2)
	v_fma_f64 v[81:82], v[69:70], v[86:87], v[2:3]
	v_fma_f64 v[83:84], v[71:72], v[86:87], -v[65:66]
	v_lshlrev_b32_e32 v71, 4, v0
	s_delay_alu instid0(VALU_DEP_1)
	v_add_nc_u32_e32 v70, v71, v85
	ds_store_b128 v70, v[13:16] offset:14336
	ds_store_b128 v70, v[17:20] offset:16128
	ds_store_b128 v70, v[5:8]
	ds_store_b128 v70, v[21:24] offset:1792
	ds_store_b128 v70, v[25:28] offset:17920
	;; [unrolled: 1-line block ×15, first 2 shown]
	s_load_b128 s[4:7], s[6:7], 0x0
	s_waitcnt lgkmcnt(0)
	s_waitcnt_vscnt null, 0x0
	s_barrier
	buffer_gl0_inv
	ds_load_b128 v[0:3], v70 offset:16128
	ds_load_b128 v[5:8], v70
	ds_load_b128 v[9:12], v70 offset:1792
	ds_load_b128 v[13:16], v70 offset:14336
	;; [unrolled: 1-line block ×16, first 2 shown]
	v_lshl_add_u32 v65, v140, 5, v71
	s_waitcnt lgkmcnt(0)
	s_barrier
	buffer_gl0_inv
	v_lshl_add_u32 v115, v100, 5, v71
	v_add_f64 v[0:1], v[5:6], -v[0:1]
	v_add_f64 v[2:3], v[7:8], -v[2:3]
	;; [unrolled: 1-line block ×18, first 2 shown]
	v_fma_f64 v[5:6], v[5:6], 2.0, -v[0:1]
	v_fma_f64 v[7:8], v[7:8], 2.0, -v[2:3]
	;; [unrolled: 1-line block ×12, first 2 shown]
	ds_store_b128 v65, v[0:3] offset:16
	v_fma_f64 v[57:58], v[57:58], 2.0, -v[53:54]
	v_fma_f64 v[59:60], v[59:60], 2.0, -v[55:56]
	;; [unrolled: 1-line block ×6, first 2 shown]
	ds_store_b128 v65, v[5:8]
	v_add_co_u32 v8, null, 0x70, v140
	v_add_co_u32 v7, null, 0x150, v140
	;; [unrolled: 1-line block ×3, first 2 shown]
	s_delay_alu instid0(VALU_DEP_3)
	v_lshl_add_u32 v0, v8, 5, v71
	v_add_co_u32 v5, null, 0x230, v140
	ds_store_b128 v0, v[9:12]
	ds_store_b128 v0, v[17:20] offset:16
	v_add_co_u32 v20, null, 0xe0, v140
	scratch_store_b32 off, v0, off offset:328 ; 4-byte Folded Spill
	v_lshlrev_b32_e32 v11, 1, v140
	v_and_b32_e32 v18, 1, v140
	v_lshl_add_u32 v0, v20, 5, v71
	s_delay_alu instid0(VALU_DEP_3)
	v_add_nc_u32_e32 v9, 0x540, v11
	v_add_nc_u32_e32 v10, 0x620, v11
	ds_store_b128 v0, v[25:28]
	ds_store_b128 v0, v[21:24] offset:16
	scratch_store_b32 off, v0, off offset:324 ; 4-byte Folded Spill
	v_lshl_add_u32 v0, v7, 5, v71
	ds_store_b128 v0, v[29:32]
	ds_store_b128 v0, v[33:36] offset:16
	scratch_store_b32 off, v0, off offset:320 ; 4-byte Folded Spill
	v_lshl_add_u32 v0, v6, 5, v71
	ds_store_b128 v0, v[41:44]
	ds_store_b128 v0, v[37:40] offset:16
	scratch_store_b32 off, v0, off offset:316 ; 4-byte Folded Spill
	v_lshl_add_u32 v0, v5, 5, v71
	ds_store_b128 v0, v[45:48]
	ds_store_b128 v0, v[49:52] offset:16
	scratch_store_b32 off, v0, off offset:312 ; 4-byte Folded Spill
	v_lshl_add_u32 v0, v9, 4, v71
	ds_store_b128 v0, v[57:60]
	ds_store_b128 v0, v[53:56] offset:16
	scratch_store_b32 off, v0, off offset:308 ; 4-byte Folded Spill
	v_lshl_add_u32 v0, v10, 4, v71
	s_clause 0x1
	scratch_store_b32 off, v65, off offset:332
	scratch_store_b32 off, v0, off offset:304
	ds_store_b128 v0, v[61:64]
	ds_store_b128 v0, v[72:75] offset:16
	v_lshlrev_b32_e32 v0, 4, v18
	ds_store_b128 v115, v[13:16]
	ds_store_b128 v115, v[76:79] offset:16
	s_waitcnt lgkmcnt(0)
	s_waitcnt_vscnt null, 0x0
	s_barrier
	buffer_gl0_inv
	global_load_b128 v[72:75], v0, s[10:11]
	ds_load_b128 v[0:3], v70 offset:16128
	ds_load_b128 v[12:15], v70 offset:14336
	s_waitcnt vmcnt(0) lgkmcnt(1)
	v_mul_f64 v[16:17], v[2:3], v[74:75]
	s_delay_alu instid0(VALU_DEP_1) | instskip(SKIP_1) | instid1(VALU_DEP_1)
	v_fma_f64 v[16:17], v[0:1], v[72:73], -v[16:17]
	v_mul_f64 v[0:1], v[0:1], v[74:75]
	v_fma_f64 v[27:28], v[2:3], v[72:73], v[0:1]
	ds_load_b128 v[0:3], v70 offset:17920
	ds_load_b128 v[21:24], v70 offset:19712
	s_waitcnt lgkmcnt(1)
	v_mul_f64 v[25:26], v[2:3], v[74:75]
	s_delay_alu instid0(VALU_DEP_1) | instskip(SKIP_1) | instid1(VALU_DEP_1)
	v_fma_f64 v[29:30], v[0:1], v[72:73], -v[25:26]
	v_mul_f64 v[0:1], v[0:1], v[74:75]
	v_fma_f64 v[31:32], v[2:3], v[72:73], v[0:1]
	s_waitcnt lgkmcnt(0)
	v_mul_f64 v[0:1], v[23:24], v[74:75]
	s_delay_alu instid0(VALU_DEP_1) | instskip(SKIP_1) | instid1(VALU_DEP_1)
	v_fma_f64 v[41:42], v[21:22], v[72:73], -v[0:1]
	v_mul_f64 v[0:1], v[21:22], v[74:75]
	v_fma_f64 v[43:44], v[23:24], v[72:73], v[0:1]
	ds_load_b128 v[0:3], v70 offset:21504
	ds_load_b128 v[21:24], v70 offset:23296
	s_waitcnt lgkmcnt(1)
	v_mul_f64 v[25:26], v[2:3], v[74:75]
	s_delay_alu instid0(VALU_DEP_1) | instskip(SKIP_1) | instid1(VALU_DEP_1)
	v_fma_f64 v[45:46], v[0:1], v[72:73], -v[25:26]
	v_mul_f64 v[0:1], v[0:1], v[74:75]
	v_fma_f64 v[47:48], v[2:3], v[72:73], v[0:1]
	s_waitcnt lgkmcnt(0)
	;; [unrolled: 14-line block ×4, first 2 shown]
	v_mul_f64 v[0:1], v[23:24], v[74:75]
	s_delay_alu instid0(VALU_DEP_1) | instskip(SKIP_1) | instid1(VALU_DEP_2)
	v_fma_f64 v[92:93], v[21:22], v[72:73], -v[0:1]
	v_mul_f64 v[0:1], v[21:22], v[74:75]
	v_add_f64 v[92:93], v[12:13], -v[92:93]
	s_delay_alu instid0(VALU_DEP_2)
	v_fma_f64 v[94:95], v[23:24], v[72:73], v[0:1]
	ds_load_b128 v[0:3], v70
	ds_load_b128 v[21:24], v70 offset:1792
	ds_load_b128 v[33:36], v70 offset:3584
	ds_load_b128 v[37:40], v70 offset:5376
	ds_load_b128 v[49:52], v70 offset:7168
	ds_load_b128 v[53:56], v70 offset:8960
	ds_load_b128 v[76:79], v70 offset:10752
	ds_load_b128 v[80:83], v70 offset:12544
	s_waitcnt lgkmcnt(0)
	s_barrier
	buffer_gl0_inv
	v_add_f64 v[25:26], v[0:1], -v[16:17]
	v_add_f64 v[27:28], v[2:3], -v[27:28]
	;; [unrolled: 1-line block ×16, first 2 shown]
	v_lshlrev_b32_e32 v16, 1, v5
	v_fma_f64 v[96:97], v[12:13], 2.0, -v[92:93]
	v_add_f64 v[94:95], v[14:15], -v[94:95]
	v_and_or_b32 v12, 0xfc, v11, v18
	v_lshlrev_b32_e32 v13, 1, v20
	v_lshlrev_b32_e32 v17, 1, v100
	s_delay_alu instid0(VALU_DEP_3)
	v_lshl_add_u32 v12, v12, 4, v71
	scratch_store_b32 off, v12, off offset:360 ; 4-byte Folded Spill
	v_fma_f64 v[0:1], v[0:1], 2.0, -v[25:26]
	v_fma_f64 v[2:3], v[2:3], 2.0, -v[27:28]
	;; [unrolled: 1-line block ×8, first 2 shown]
	ds_store_b128 v12, v[25:28] offset:32
	v_fma_f64 v[49:50], v[49:50], 2.0, -v[57:58]
	v_fma_f64 v[51:52], v[51:52], 2.0, -v[59:60]
	;; [unrolled: 1-line block ×9, first 2 shown]
	v_lshlrev_b32_e32 v14, 1, v7
	v_lshlrev_b32_e32 v15, 1, v6
	ds_store_b128 v12, v[0:3]
	v_lshlrev_b32_e32 v12, 1, v8
	s_delay_alu instid0(VALU_DEP_1) | instskip(NEXT) | instid1(VALU_DEP_1)
	v_and_or_b32 v0, 0x1fc, v12, v18
	v_lshl_add_u32 v0, v0, 4, v71
	ds_store_b128 v0, v[21:24]
	ds_store_b128 v0, v[29:32] offset:32
	scratch_store_b32 off, v0, off offset:368 ; 4-byte Folded Spill
	v_and_or_b32 v0, 0x3fc, v13, v18
	s_delay_alu instid0(VALU_DEP_1) | instskip(SKIP_4) | instid1(VALU_DEP_1)
	v_lshl_add_u32 v0, v0, 4, v71
	ds_store_b128 v0, v[33:36]
	ds_store_b128 v0, v[41:44] offset:32
	scratch_store_b32 off, v0, off offset:364 ; 4-byte Folded Spill
	v_and_or_b32 v0, 0x3fc, v14, v18
	v_lshl_add_u32 v0, v0, 4, v71
	ds_store_b128 v0, v[37:40]
	ds_store_b128 v0, v[45:48] offset:32
	scratch_store_b32 off, v0, off offset:356 ; 4-byte Folded Spill
	v_and_or_b32 v0, 0x7fc, v15, v18
	s_delay_alu instid0(VALU_DEP_1) | instskip(SKIP_4) | instid1(VALU_DEP_1)
	v_lshl_add_u32 v0, v0, 4, v71
	ds_store_b128 v0, v[49:52]
	ds_store_b128 v0, v[57:60] offset:32
	scratch_store_b32 off, v0, off offset:352 ; 4-byte Folded Spill
	;; [unrolled: 11-line block ×3, first 2 shown]
	v_and_or_b32 v0, 0x7fc, v10, v18
	v_lshl_add_u32 v0, v0, 4, v71
	ds_store_b128 v0, v[80:83]
	ds_store_b128 v0, v[88:91] offset:32
	scratch_store_b32 off, v0, off offset:340 ; 4-byte Folded Spill
	v_and_or_b32 v0, 0x7fc, v17, v18
	v_and_b32_e32 v18, 3, v140
	s_delay_alu instid0(VALU_DEP_2)
	v_lshl_add_u32 v0, v0, 4, v71
	scratch_store_b32 off, v100, off offset:12 ; 4-byte Folded Spill
	v_and_or_b32 v19, 0xf8, v11, v18
	scratch_store_b32 off, v0, off offset:336 ; 4-byte Folded Spill
	ds_store_b128 v0, v[96:99]
	ds_store_b128 v0, v[92:95] offset:32
	v_lshlrev_b32_e32 v0, 4, v18
	s_waitcnt lgkmcnt(0)
	s_waitcnt_vscnt null, 0x0
	s_barrier
	buffer_gl0_inv
	v_lshl_add_u32 v19, v19, 4, v71
	global_load_b128 v[76:79], v0, s[10:11] offset:32
	ds_load_b128 v[0:3], v70 offset:16128
	ds_load_b128 v[21:24], v70 offset:14336
	s_waitcnt vmcnt(0) lgkmcnt(1)
	v_mul_f64 v[25:26], v[2:3], v[78:79]
	s_delay_alu instid0(VALU_DEP_1) | instskip(SKIP_1) | instid1(VALU_DEP_1)
	v_fma_f64 v[29:30], v[0:1], v[76:77], -v[25:26]
	v_mul_f64 v[0:1], v[0:1], v[78:79]
	v_fma_f64 v[31:32], v[2:3], v[76:77], v[0:1]
	ds_load_b128 v[0:3], v70 offset:17920
	ds_load_b128 v[25:28], v70 offset:19712
	s_waitcnt lgkmcnt(1)
	v_mul_f64 v[33:34], v[2:3], v[78:79]
	s_delay_alu instid0(VALU_DEP_1) | instskip(SKIP_1) | instid1(VALU_DEP_1)
	v_fma_f64 v[33:34], v[0:1], v[76:77], -v[33:34]
	v_mul_f64 v[0:1], v[0:1], v[78:79]
	v_fma_f64 v[35:36], v[2:3], v[76:77], v[0:1]
	s_waitcnt lgkmcnt(0)
	v_mul_f64 v[0:1], v[27:28], v[78:79]
	s_delay_alu instid0(VALU_DEP_1) | instskip(SKIP_1) | instid1(VALU_DEP_1)
	v_fma_f64 v[45:46], v[25:26], v[76:77], -v[0:1]
	v_mul_f64 v[0:1], v[25:26], v[78:79]
	v_fma_f64 v[47:48], v[27:28], v[76:77], v[0:1]
	ds_load_b128 v[0:3], v70 offset:21504
	ds_load_b128 v[25:28], v70 offset:23296
	s_waitcnt lgkmcnt(1)
	v_mul_f64 v[37:38], v[2:3], v[78:79]
	s_delay_alu instid0(VALU_DEP_1) | instskip(SKIP_1) | instid1(VALU_DEP_1)
	v_fma_f64 v[49:50], v[0:1], v[76:77], -v[37:38]
	v_mul_f64 v[0:1], v[0:1], v[78:79]
	v_fma_f64 v[51:52], v[2:3], v[76:77], v[0:1]
	s_waitcnt lgkmcnt(0)
	;; [unrolled: 14-line block ×4, first 2 shown]
	v_mul_f64 v[0:1], v[27:28], v[78:79]
	s_delay_alu instid0(VALU_DEP_1) | instskip(SKIP_1) | instid1(VALU_DEP_2)
	v_fma_f64 v[100:101], v[25:26], v[76:77], -v[0:1]
	v_mul_f64 v[0:1], v[25:26], v[78:79]
	v_add_f64 v[100:101], v[21:22], -v[100:101]
	s_delay_alu instid0(VALU_DEP_2)
	v_fma_f64 v[102:103], v[27:28], v[76:77], v[0:1]
	ds_load_b128 v[0:3], v70
	ds_load_b128 v[25:28], v70 offset:1792
	ds_load_b128 v[37:40], v70 offset:3584
	;; [unrolled: 1-line block ×7, first 2 shown]
	s_waitcnt lgkmcnt(0)
	s_barrier
	buffer_gl0_inv
	v_add_f64 v[29:30], v[0:1], -v[29:30]
	v_add_f64 v[31:32], v[2:3], -v[31:32]
	;; [unrolled: 1-line block ×16, first 2 shown]
	v_fma_f64 v[21:22], v[21:22], 2.0, -v[100:101]
	v_add_f64 v[102:103], v[23:24], -v[102:103]
	v_fma_f64 v[0:1], v[0:1], 2.0, -v[29:30]
	v_fma_f64 v[2:3], v[2:3], 2.0, -v[31:32]
	;; [unrolled: 1-line block ×8, first 2 shown]
	ds_store_b128 v19, v[29:32] offset:64
	v_fma_f64 v[53:54], v[53:54], 2.0, -v[61:62]
	v_fma_f64 v[55:56], v[55:56], 2.0, -v[63:64]
	;; [unrolled: 1-line block ×9, first 2 shown]
	ds_store_b128 v19, v[0:3]
	v_and_or_b32 v0, 0x1f8, v12, v18
	s_delay_alu instid0(VALU_DEP_1) | instskip(SKIP_4) | instid1(VALU_DEP_1)
	v_lshl_add_u32 v0, v0, 4, v71
	ds_store_b128 v0, v[25:28]
	ds_store_b128 v0, v[33:36] offset:64
	scratch_store_b32 off, v0, off offset:404 ; 4-byte Folded Spill
	v_and_or_b32 v0, 0x3f8, v13, v18
	v_lshl_add_u32 v0, v0, 4, v71
	ds_store_b128 v0, v[37:40]
	ds_store_b128 v0, v[45:48] offset:64
	scratch_store_b32 off, v0, off offset:400 ; 4-byte Folded Spill
	v_and_or_b32 v0, 0x3f8, v14, v18
	s_delay_alu instid0(VALU_DEP_1) | instskip(SKIP_4) | instid1(VALU_DEP_1)
	v_lshl_add_u32 v0, v0, 4, v71
	ds_store_b128 v0, v[41:44]
	ds_store_b128 v0, v[49:52] offset:64
	scratch_store_b32 off, v0, off offset:392 ; 4-byte Folded Spill
	v_and_or_b32 v0, 0x7f8, v15, v18
	v_lshl_add_u32 v0, v0, 4, v71
	ds_store_b128 v0, v[53:56]
	ds_store_b128 v0, v[61:64] offset:64
	scratch_store_b32 off, v0, off offset:388 ; 4-byte Folded Spill
	;; [unrolled: 11-line block ×3, first 2 shown]
	v_and_or_b32 v0, 0x7f8, v10, v18
	s_delay_alu instid0(VALU_DEP_1)
	v_lshl_add_u32 v0, v0, 4, v71
	ds_store_b128 v0, v[88:91]
	ds_store_b128 v0, v[96:99] offset:64
	scratch_store_b32 off, v0, off offset:376 ; 4-byte Folded Spill
	v_and_or_b32 v0, 0x7f8, v17, v18
	v_and_b32_e32 v18, 7, v140
	s_delay_alu instid0(VALU_DEP_2)
	v_lshl_add_u32 v0, v0, 4, v71
	scratch_store_b32 off, v19, off offset:396 ; 4-byte Folded Spill
	v_and_or_b32 v19, 0xf0, v11, v18
	scratch_store_b32 off, v0, off offset:372 ; 4-byte Folded Spill
	ds_store_b128 v0, v[21:24]
	ds_store_b128 v0, v[100:103] offset:64
	v_lshlrev_b32_e32 v0, 4, v18
	s_waitcnt lgkmcnt(0)
	s_waitcnt_vscnt null, 0x0
	s_barrier
	buffer_gl0_inv
	v_lshl_add_u32 v19, v19, 4, v71
	global_load_b128 v[80:83], v0, s[10:11] offset:96
	ds_load_b128 v[0:3], v70 offset:16128
	ds_load_b128 v[21:24], v70 offset:14336
	s_waitcnt vmcnt(0) lgkmcnt(1)
	v_mul_f64 v[25:26], v[2:3], v[82:83]
	s_delay_alu instid0(VALU_DEP_1) | instskip(SKIP_1) | instid1(VALU_DEP_1)
	v_fma_f64 v[29:30], v[0:1], v[80:81], -v[25:26]
	v_mul_f64 v[0:1], v[0:1], v[82:83]
	v_fma_f64 v[31:32], v[2:3], v[80:81], v[0:1]
	ds_load_b128 v[0:3], v70 offset:17920
	ds_load_b128 v[25:28], v70 offset:19712
	s_waitcnt lgkmcnt(1)
	v_mul_f64 v[33:34], v[2:3], v[82:83]
	s_delay_alu instid0(VALU_DEP_1) | instskip(SKIP_1) | instid1(VALU_DEP_1)
	v_fma_f64 v[33:34], v[0:1], v[80:81], -v[33:34]
	v_mul_f64 v[0:1], v[0:1], v[82:83]
	v_fma_f64 v[35:36], v[2:3], v[80:81], v[0:1]
	s_waitcnt lgkmcnt(0)
	v_mul_f64 v[0:1], v[27:28], v[82:83]
	s_delay_alu instid0(VALU_DEP_1) | instskip(SKIP_1) | instid1(VALU_DEP_1)
	v_fma_f64 v[45:46], v[25:26], v[80:81], -v[0:1]
	v_mul_f64 v[0:1], v[25:26], v[82:83]
	v_fma_f64 v[47:48], v[27:28], v[80:81], v[0:1]
	ds_load_b128 v[0:3], v70 offset:21504
	ds_load_b128 v[25:28], v70 offset:23296
	s_waitcnt lgkmcnt(1)
	v_mul_f64 v[37:38], v[2:3], v[82:83]
	s_delay_alu instid0(VALU_DEP_1) | instskip(SKIP_1) | instid1(VALU_DEP_1)
	v_fma_f64 v[49:50], v[0:1], v[80:81], -v[37:38]
	v_mul_f64 v[0:1], v[0:1], v[82:83]
	v_fma_f64 v[51:52], v[2:3], v[80:81], v[0:1]
	s_waitcnt lgkmcnt(0)
	v_mul_f64 v[0:1], v[27:28], v[82:83]
	s_delay_alu instid0(VALU_DEP_1) | instskip(SKIP_1) | instid1(VALU_DEP_1)
	v_fma_f64 v[61:62], v[25:26], v[80:81], -v[0:1]
	v_mul_f64 v[0:1], v[25:26], v[82:83]
	v_fma_f64 v[63:64], v[27:28], v[80:81], v[0:1]
	ds_load_b128 v[0:3], v70 offset:25088
	ds_load_b128 v[25:28], v70 offset:26880
	s_waitcnt lgkmcnt(1)
	v_mul_f64 v[37:38], v[2:3], v[82:83]
	s_delay_alu instid0(VALU_DEP_1) | instskip(SKIP_1) | instid1(VALU_DEP_1)
	v_fma_f64 v[65:66], v[0:1], v[80:81], -v[37:38]
	v_mul_f64 v[0:1], v[0:1], v[82:83]
	v_fma_f64 v[67:68], v[2:3], v[80:81], v[0:1]
	s_waitcnt lgkmcnt(0)
	v_mul_f64 v[0:1], v[27:28], v[82:83]
	s_delay_alu instid0(VALU_DEP_1) | instskip(SKIP_1) | instid1(VALU_DEP_1)
	v_fma_f64 v[96:97], v[25:26], v[80:81], -v[0:1]
	v_mul_f64 v[0:1], v[25:26], v[82:83]
	v_fma_f64 v[98:99], v[27:28], v[80:81], v[0:1]
	ds_load_b128 v[0:3], v70 offset:28672
	ds_load_b128 v[25:28], v70 offset:30464
	s_waitcnt lgkmcnt(1)
	v_mul_f64 v[37:38], v[2:3], v[82:83]
	s_delay_alu instid0(VALU_DEP_1) | instskip(SKIP_1) | instid1(VALU_DEP_1)
	v_fma_f64 v[100:101], v[0:1], v[80:81], -v[37:38]
	v_mul_f64 v[0:1], v[0:1], v[82:83]
	v_fma_f64 v[102:103], v[2:3], v[80:81], v[0:1]
	s_waitcnt lgkmcnt(0)
	v_mul_f64 v[0:1], v[27:28], v[82:83]
	s_delay_alu instid0(VALU_DEP_1) | instskip(SKIP_1) | instid1(VALU_DEP_2)
	v_fma_f64 v[104:105], v[25:26], v[80:81], -v[0:1]
	v_mul_f64 v[0:1], v[25:26], v[82:83]
	v_add_f64 v[104:105], v[21:22], -v[104:105]
	s_delay_alu instid0(VALU_DEP_2)
	v_fma_f64 v[106:107], v[27:28], v[80:81], v[0:1]
	ds_load_b128 v[0:3], v70
	ds_load_b128 v[25:28], v70 offset:1792
	ds_load_b128 v[37:40], v70 offset:3584
	ds_load_b128 v[41:44], v70 offset:5376
	ds_load_b128 v[53:56], v70 offset:7168
	ds_load_b128 v[57:60], v70 offset:8960
	ds_load_b128 v[88:91], v70 offset:10752
	ds_load_b128 v[92:95], v70 offset:12544
	s_waitcnt lgkmcnt(0)
	s_barrier
	buffer_gl0_inv
	v_add_f64 v[29:30], v[0:1], -v[29:30]
	v_add_f64 v[31:32], v[2:3], -v[31:32]
	;; [unrolled: 1-line block ×16, first 2 shown]
	v_fma_f64 v[21:22], v[21:22], 2.0, -v[104:105]
	v_add_f64 v[106:107], v[23:24], -v[106:107]
	v_fma_f64 v[0:1], v[0:1], 2.0, -v[29:30]
	v_fma_f64 v[2:3], v[2:3], 2.0, -v[31:32]
	;; [unrolled: 1-line block ×8, first 2 shown]
	ds_store_b128 v19, v[29:32] offset:128
	v_fma_f64 v[53:54], v[53:54], 2.0, -v[61:62]
	v_fma_f64 v[55:56], v[55:56], 2.0, -v[63:64]
	;; [unrolled: 1-line block ×9, first 2 shown]
	ds_store_b128 v19, v[0:3]
	v_and_or_b32 v0, 0x1f0, v12, v18
	s_delay_alu instid0(VALU_DEP_1) | instskip(SKIP_4) | instid1(VALU_DEP_1)
	v_lshl_add_u32 v0, v0, 4, v71
	ds_store_b128 v0, v[25:28]
	ds_store_b128 v0, v[33:36] offset:128
	scratch_store_b32 off, v0, off offset:496 ; 4-byte Folded Spill
	v_and_or_b32 v0, 0x3f0, v13, v18
	v_lshl_add_u32 v0, v0, 4, v71
	ds_store_b128 v0, v[37:40]
	ds_store_b128 v0, v[45:48] offset:128
	scratch_store_b32 off, v0, off offset:492 ; 4-byte Folded Spill
	v_and_or_b32 v0, 0x3f0, v14, v18
	s_delay_alu instid0(VALU_DEP_1) | instskip(SKIP_4) | instid1(VALU_DEP_1)
	v_lshl_add_u32 v0, v0, 4, v71
	ds_store_b128 v0, v[41:44]
	ds_store_b128 v0, v[49:52] offset:128
	scratch_store_b32 off, v0, off offset:484 ; 4-byte Folded Spill
	v_and_or_b32 v0, 0x7f0, v15, v18
	v_lshl_add_u32 v0, v0, 4, v71
	ds_store_b128 v0, v[53:56]
	ds_store_b128 v0, v[61:64] offset:128
	scratch_store_b32 off, v0, off offset:480 ; 4-byte Folded Spill
	;; [unrolled: 11-line block ×3, first 2 shown]
	v_and_or_b32 v0, 0x7f0, v10, v18
	s_delay_alu instid0(VALU_DEP_1)
	v_lshl_add_u32 v0, v0, 4, v71
	ds_store_b128 v0, v[92:95]
	ds_store_b128 v0, v[100:103] offset:128
	scratch_store_b32 off, v0, off offset:468 ; 4-byte Folded Spill
	v_and_or_b32 v0, 0x7f0, v17, v18
	v_and_b32_e32 v18, 15, v140
	s_delay_alu instid0(VALU_DEP_2)
	v_lshl_add_u32 v0, v0, 4, v71
	scratch_store_b32 off, v19, off offset:488 ; 4-byte Folded Spill
	v_and_or_b32 v11, 0xe0, v11, v18
	scratch_store_b32 off, v0, off offset:464 ; 4-byte Folded Spill
	ds_store_b128 v0, v[21:24]
	ds_store_b128 v0, v[104:107] offset:128
	v_lshlrev_b32_e32 v0, 4, v18
	s_waitcnt lgkmcnt(0)
	s_waitcnt_vscnt null, 0x0
	s_barrier
	buffer_gl0_inv
	v_lshl_add_u32 v11, v11, 4, v71
	global_load_b128 v[84:87], v0, s[10:11] offset:224
	ds_load_b128 v[0:3], v70 offset:16128
	ds_load_b128 v[21:24], v70 offset:14336
	s_waitcnt vmcnt(0) lgkmcnt(1)
	v_mul_f64 v[25:26], v[2:3], v[86:87]
	s_delay_alu instid0(VALU_DEP_1) | instskip(SKIP_1) | instid1(VALU_DEP_1)
	v_fma_f64 v[29:30], v[0:1], v[84:85], -v[25:26]
	v_mul_f64 v[0:1], v[0:1], v[86:87]
	v_fma_f64 v[31:32], v[2:3], v[84:85], v[0:1]
	ds_load_b128 v[0:3], v70 offset:17920
	ds_load_b128 v[25:28], v70 offset:19712
	s_waitcnt lgkmcnt(1)
	v_mul_f64 v[33:34], v[2:3], v[86:87]
	s_delay_alu instid0(VALU_DEP_1) | instskip(SKIP_1) | instid1(VALU_DEP_1)
	v_fma_f64 v[33:34], v[0:1], v[84:85], -v[33:34]
	v_mul_f64 v[0:1], v[0:1], v[86:87]
	v_fma_f64 v[35:36], v[2:3], v[84:85], v[0:1]
	s_waitcnt lgkmcnt(0)
	v_mul_f64 v[0:1], v[27:28], v[86:87]
	s_delay_alu instid0(VALU_DEP_1) | instskip(SKIP_1) | instid1(VALU_DEP_1)
	v_fma_f64 v[45:46], v[25:26], v[84:85], -v[0:1]
	v_mul_f64 v[0:1], v[25:26], v[86:87]
	v_fma_f64 v[47:48], v[27:28], v[84:85], v[0:1]
	ds_load_b128 v[0:3], v70 offset:21504
	ds_load_b128 v[25:28], v70 offset:23296
	s_waitcnt lgkmcnt(1)
	v_mul_f64 v[37:38], v[2:3], v[86:87]
	s_delay_alu instid0(VALU_DEP_1) | instskip(SKIP_1) | instid1(VALU_DEP_1)
	v_fma_f64 v[49:50], v[0:1], v[84:85], -v[37:38]
	v_mul_f64 v[0:1], v[0:1], v[86:87]
	v_fma_f64 v[51:52], v[2:3], v[84:85], v[0:1]
	s_waitcnt lgkmcnt(0)
	;; [unrolled: 14-line block ×4, first 2 shown]
	v_mul_f64 v[0:1], v[27:28], v[86:87]
	s_delay_alu instid0(VALU_DEP_1) | instskip(SKIP_1) | instid1(VALU_DEP_2)
	v_fma_f64 v[108:109], v[25:26], v[84:85], -v[0:1]
	v_mul_f64 v[0:1], v[25:26], v[86:87]
	v_add_f64 v[108:109], v[21:22], -v[108:109]
	s_delay_alu instid0(VALU_DEP_2)
	v_fma_f64 v[110:111], v[27:28], v[84:85], v[0:1]
	ds_load_b128 v[0:3], v70
	ds_load_b128 v[25:28], v70 offset:1792
	ds_load_b128 v[37:40], v70 offset:3584
	;; [unrolled: 1-line block ×7, first 2 shown]
	s_waitcnt lgkmcnt(0)
	s_barrier
	buffer_gl0_inv
	v_add_f64 v[29:30], v[0:1], -v[29:30]
	v_add_f64 v[31:32], v[2:3], -v[31:32]
	;; [unrolled: 1-line block ×16, first 2 shown]
	v_fma_f64 v[21:22], v[21:22], 2.0, -v[108:109]
	v_add_f64 v[110:111], v[23:24], -v[110:111]
	v_fma_f64 v[0:1], v[0:1], 2.0, -v[29:30]
	v_fma_f64 v[2:3], v[2:3], 2.0, -v[31:32]
	;; [unrolled: 1-line block ×8, first 2 shown]
	ds_store_b128 v11, v[29:32] offset:256
	v_fma_f64 v[53:54], v[53:54], 2.0, -v[61:62]
	v_fma_f64 v[55:56], v[55:56], 2.0, -v[63:64]
	;; [unrolled: 1-line block ×9, first 2 shown]
	ds_store_b128 v11, v[0:3]
	v_and_or_b32 v0, 0x1e0, v12, v18
	v_and_b32_e32 v3, 31, v8
	s_delay_alu instid0(VALU_DEP_2) | instskip(SKIP_4) | instid1(VALU_DEP_1)
	v_lshl_add_u32 v0, v0, 4, v71
	ds_store_b128 v0, v[25:28]
	ds_store_b128 v0, v[33:36] offset:256
	scratch_store_b32 off, v0, off offset:576 ; 4-byte Folded Spill
	v_and_or_b32 v0, 0x3e0, v13, v18
	v_lshl_add_u32 v0, v0, 4, v71
	ds_store_b128 v0, v[37:40]
	ds_store_b128 v0, v[45:48] offset:256
	scratch_store_b32 off, v0, off offset:572 ; 4-byte Folded Spill
	v_and_or_b32 v0, 0x3e0, v14, v18
	s_delay_alu instid0(VALU_DEP_1) | instskip(SKIP_4) | instid1(VALU_DEP_1)
	v_lshl_add_u32 v0, v0, 4, v71
	ds_store_b128 v0, v[41:44]
	ds_store_b128 v0, v[49:52] offset:256
	scratch_store_b32 off, v0, off offset:564 ; 4-byte Folded Spill
	v_and_or_b32 v0, 0x7e0, v15, v18
	v_lshl_add_u32 v0, v0, 4, v71
	ds_store_b128 v0, v[53:56]
	ds_store_b128 v0, v[61:64] offset:256
	scratch_store_b32 off, v0, off offset:560 ; 4-byte Folded Spill
	v_and_or_b32 v0, 0x5e0, v16, v18
	s_delay_alu instid0(VALU_DEP_1) | instskip(SKIP_4) | instid1(VALU_DEP_1)
	;; [unrolled: 11-line block ×3, first 2 shown]
	v_lshl_add_u32 v0, v0, 4, v71
	ds_store_b128 v0, v[96:99]
	ds_store_b128 v0, v[104:107] offset:256
	scratch_store_b32 off, v0, off offset:532 ; 4-byte Folded Spill
	v_and_or_b32 v0, 0x7e0, v17, v18
	v_lshl_add_u32 v0, v0, 4, v71
	s_clause 0x1
	scratch_store_b32 off, v11, off offset:568
	scratch_store_b32 off, v0, off offset:528
	ds_store_b128 v0, v[21:24]
	ds_store_b128 v0, v[108:111] offset:256
	v_and_b32_e32 v0, 31, v140
	s_waitcnt lgkmcnt(0)
	s_waitcnt_vscnt null, 0x0
	s_barrier
	buffer_gl0_inv
	v_lshlrev_b32_e32 v1, 5, v0
	s_clause 0x1
	global_load_b128 v[88:91], v1, s[10:11] offset:480
	global_load_b128 v[92:95], v1, s[10:11] offset:496
	ds_load_b128 v[9:12], v70 offset:10752
	ds_load_b128 v[21:24], v70 offset:12544
	s_waitcnt vmcnt(1) lgkmcnt(1)
	v_mul_f64 v[1:2], v[11:12], v[90:91]
	s_delay_alu instid0(VALU_DEP_1) | instskip(SKIP_1) | instid1(VALU_DEP_1)
	v_fma_f64 v[13:14], v[9:10], v[88:89], -v[1:2]
	v_mul_f64 v[1:2], v[9:10], v[90:91]
	v_fma_f64 v[15:16], v[11:12], v[88:89], v[1:2]
	ds_load_b128 v[9:12], v70 offset:21504
	ds_load_b128 v[25:28], v70 offset:23296
	s_waitcnt vmcnt(0) lgkmcnt(1)
	v_mul_f64 v[1:2], v[11:12], v[94:95]
	s_delay_alu instid0(VALU_DEP_1) | instskip(SKIP_1) | instid1(VALU_DEP_1)
	v_fma_f64 v[17:18], v[9:10], v[92:93], -v[1:2]
	v_mul_f64 v[1:2], v[9:10], v[94:95]
	v_fma_f64 v[29:30], v[11:12], v[92:93], v[1:2]
	v_and_b32_e32 v1, 31, v5
	v_lshlrev_b32_e32 v2, 5, v3
	s_delay_alu instid0(VALU_DEP_2)
	v_lshlrev_b32_e32 v19, 5, v1
	s_clause 0x1
	global_load_b64 v[11:12], v2, s[10:11] offset:480
	global_load_b128 v[41:44], v19, s[10:11] offset:480
	v_and_b32_e32 v2, 31, v7
	s_waitcnt vmcnt(1)
	scratch_store_b64 off, v[11:12], off offset:504 ; 8-byte Folded Spill
	s_clause 0x1
	global_load_b128 v[96:99], v19, s[10:11] offset:496
	global_load_b128 v[45:48], v19, s[10:11] offset:488
	s_waitcnt vmcnt(2)
	v_mul_f64 v[9:10], v[23:24], v[43:44]
	s_delay_alu instid0(VALU_DEP_1) | instskip(SKIP_1) | instid1(VALU_DEP_1)
	v_fma_f64 v[33:34], v[21:22], v[11:12], -v[9:10]
	v_mul_f64 v[9:10], v[21:22], v[43:44]
	v_fma_f64 v[35:36], v[23:24], v[11:12], v[9:10]
	s_waitcnt vmcnt(1) lgkmcnt(0)
	v_mul_f64 v[9:10], v[27:28], v[98:99]
	s_waitcnt vmcnt(0)
	s_delay_alu instid0(VALU_DEP_1) | instskip(SKIP_1) | instid1(VALU_DEP_1)
	v_fma_f64 v[37:38], v[25:26], v[47:48], -v[9:10]
	v_mul_f64 v[9:10], v[25:26], v[98:99]
	v_fma_f64 v[39:40], v[27:28], v[47:48], v[9:10]
	ds_load_b128 v[9:12], v70 offset:14336
	ds_load_b128 v[21:24], v70 offset:16128
	s_waitcnt lgkmcnt(1)
	v_mul_f64 v[25:26], v[11:12], v[90:91]
	s_delay_alu instid0(VALU_DEP_1) | instskip(SKIP_1) | instid1(VALU_DEP_1)
	v_fma_f64 v[49:50], v[9:10], v[88:89], -v[25:26]
	v_mul_f64 v[9:10], v[9:10], v[90:91]
	v_fma_f64 v[51:52], v[11:12], v[88:89], v[9:10]
	ds_load_b128 v[9:12], v70 offset:25088
	ds_load_b128 v[25:28], v70 offset:26880
	s_waitcnt lgkmcnt(1)
	v_mul_f64 v[31:32], v[11:12], v[94:95]
	s_delay_alu instid0(VALU_DEP_1) | instskip(SKIP_1) | instid1(VALU_DEP_1)
	v_fma_f64 v[53:54], v[9:10], v[92:93], -v[31:32]
	v_mul_f64 v[9:10], v[9:10], v[94:95]
	v_fma_f64 v[55:56], v[11:12], v[92:93], v[9:10]
	v_lshlrev_b32_e32 v11, 5, v2
	s_clause 0x1
	global_load_b64 v[100:101], v19, s[10:11] offset:504
	global_load_b128 v[120:123], v11, s[10:11] offset:480
	s_waitcnt vmcnt(1)
	v_mov_b32_e32 v114, v101
	s_waitcnt vmcnt(0)
	v_mul_f64 v[9:10], v[23:24], v[122:123]
	v_mov_b32_e32 v113, v100
	s_delay_alu instid0(VALU_DEP_2) | instskip(SKIP_1) | instid1(VALU_DEP_1)
	v_fma_f64 v[57:58], v[21:22], v[120:121], -v[9:10]
	v_mul_f64 v[9:10], v[21:22], v[122:123]
	v_fma_f64 v[59:60], v[23:24], v[120:121], v[9:10]
	global_load_b128 v[21:24], v11, s[10:11] offset:496
	s_waitcnt vmcnt(0) lgkmcnt(0)
	v_mul_f64 v[9:10], v[27:28], v[23:24]
	scratch_store_b128 off, v[21:24], off offset:536 ; 16-byte Folded Spill
	v_fma_f64 v[61:62], v[25:26], v[21:22], -v[9:10]
	v_mul_f64 v[9:10], v[25:26], v[23:24]
	s_delay_alu instid0(VALU_DEP_1) | instskip(SKIP_4) | instid1(VALU_DEP_1)
	v_fma_f64 v[63:64], v[27:28], v[21:22], v[9:10]
	ds_load_b128 v[9:12], v70 offset:17920
	ds_load_b128 v[21:24], v70 offset:19712
	s_waitcnt lgkmcnt(1)
	v_mul_f64 v[25:26], v[11:12], v[90:91]
	v_fma_f64 v[65:66], v[9:10], v[88:89], -v[25:26]
	v_mul_f64 v[9:10], v[9:10], v[90:91]
	s_delay_alu instid0(VALU_DEP_1)
	v_fma_f64 v[67:68], v[11:12], v[88:89], v[9:10]
	ds_load_b128 v[9:12], v70 offset:28672
	ds_load_b128 v[25:28], v70 offset:30464
	s_clause 0x2
	scratch_store_b128 off, v[45:48], off offset:432
	scratch_store_b128 off, v[41:44], off offset:416
	;; [unrolled: 1-line block ×3, first 2 shown]
	s_waitcnt lgkmcnt(1)
	v_mul_f64 v[31:32], v[11:12], v[94:95]
	s_delay_alu instid0(VALU_DEP_1) | instskip(SKIP_1) | instid1(VALU_DEP_1)
	v_fma_f64 v[124:125], v[9:10], v[92:93], -v[31:32]
	v_mul_f64 v[9:10], v[9:10], v[94:95]
	v_fma_f64 v[126:127], v[11:12], v[92:93], v[9:10]
	v_mul_f64 v[9:10], v[23:24], v[45:46]
	s_delay_alu instid0(VALU_DEP_1) | instskip(SKIP_1) | instid1(VALU_DEP_1)
	v_fma_f64 v[132:133], v[21:22], v[41:42], -v[9:10]
	v_mul_f64 v[9:10], v[21:22], v[45:46]
	v_fma_f64 v[134:135], v[23:24], v[41:42], v[9:10]
	s_waitcnt lgkmcnt(0)
	v_mul_f64 v[9:10], v[27:28], v[100:101]
	s_delay_alu instid0(VALU_DEP_1) | instskip(SKIP_2) | instid1(VALU_DEP_2)
	v_fma_f64 v[136:137], v[25:26], v[96:97], -v[9:10]
	v_mul_f64 v[9:10], v[25:26], v[100:101]
	v_add_f64 v[25:26], v[13:14], v[17:18]
	v_fma_f64 v[138:139], v[27:28], v[96:97], v[9:10]
	ds_load_b128 v[9:12], v70
	ds_load_b128 v[21:24], v70 offset:1792
	ds_load_b128 v[41:44], v70 offset:3584
	;; [unrolled: 1-line block ×5, first 2 shown]
	s_waitcnt lgkmcnt(0)
	s_waitcnt_vscnt null, 0x0
	s_barrier
	buffer_gl0_inv
	v_fma_f64 v[27:28], v[25:26], -0.5, v[9:10]
	v_add_f64 v[25:26], v[15:16], v[29:30]
	v_add_f64 v[9:10], v[9:10], v[13:14]
	v_add_f64 v[13:14], v[13:14], -v[17:18]
	s_delay_alu instid0(VALU_DEP_3) | instskip(SKIP_4) | instid1(VALU_DEP_4)
	v_fma_f64 v[31:32], v[25:26], -0.5, v[11:12]
	v_add_f64 v[11:12], v[11:12], v[15:16]
	v_add_f64 v[15:16], v[15:16], -v[29:30]
	v_add_f64 v[9:10], v[9:10], v[17:18]
	v_add_f64 v[17:18], v[23:24], v[35:36]
	v_add_f64 v[11:12], v[11:12], v[29:30]
	s_delay_alu instid0(VALU_DEP_4)
	v_fma_f64 v[25:26], v[15:16], s[2:3], v[27:28]
	v_fma_f64 v[29:30], v[15:16], s[12:13], v[27:28]
	;; [unrolled: 1-line block ×4, first 2 shown]
	v_add_f64 v[13:14], v[33:34], v[37:38]
	v_add_f64 v[15:16], v[35:36], v[39:40]
	v_add_f64 v[35:36], v[35:36], -v[39:40]
	s_delay_alu instid0(VALU_DEP_3) | instskip(SKIP_1) | instid1(VALU_DEP_4)
	v_fma_f64 v[13:14], v[13:14], -0.5, v[21:22]
	v_add_f64 v[21:22], v[21:22], v[33:34]
	v_fma_f64 v[15:16], v[15:16], -0.5, v[23:24]
	v_add_f64 v[23:24], v[17:18], v[39:40]
	v_add_f64 v[17:18], v[33:34], -v[37:38]
	v_fma_f64 v[33:34], v[35:36], s[2:3], v[13:14]
	v_add_f64 v[21:22], v[21:22], v[37:38]
	v_fma_f64 v[37:38], v[35:36], s[12:13], v[13:14]
	v_add_f64 v[13:14], v[49:50], v[53:54]
	v_fma_f64 v[35:36], v[17:18], s[12:13], v[15:16]
	v_fma_f64 v[39:40], v[17:18], s[2:3], v[15:16]
	v_add_f64 v[15:16], v[51:52], v[55:56]
	v_add_f64 v[17:18], v[43:44], v[51:52]
	v_add_f64 v[51:52], v[51:52], -v[55:56]
	v_fma_f64 v[13:14], v[13:14], -0.5, v[41:42]
	v_add_f64 v[41:42], v[41:42], v[49:50]
	v_fma_f64 v[15:16], v[15:16], -0.5, v[43:44]
	v_add_f64 v[43:44], v[17:18], v[55:56]
	v_add_f64 v[17:18], v[49:50], -v[53:54]
	v_fma_f64 v[49:50], v[51:52], s[2:3], v[13:14]
	v_add_f64 v[41:42], v[41:42], v[53:54]
	v_fma_f64 v[53:54], v[51:52], s[12:13], v[13:14]
	v_add_f64 v[13:14], v[57:58], v[61:62]
	v_fma_f64 v[51:52], v[17:18], s[12:13], v[15:16]
	v_fma_f64 v[55:56], v[17:18], s[2:3], v[15:16]
	v_add_f64 v[15:16], v[59:60], v[63:64]
	v_add_f64 v[17:18], v[47:48], v[59:60]
	v_add_f64 v[59:60], v[59:60], -v[63:64]
	;; [unrolled: 14-line block ×3, first 2 shown]
	v_fma_f64 v[13:14], v[13:14], -0.5, v[108:109]
	v_add_f64 v[108:109], v[108:109], v[65:66]
	v_fma_f64 v[15:16], v[15:16], -0.5, v[110:111]
	v_add_f64 v[110:111], v[17:18], v[126:127]
	v_add_f64 v[17:18], v[65:66], -v[124:125]
	v_add_f64 v[65:66], v[116:117], v[132:133]
	v_fma_f64 v[128:129], v[67:68], s[12:13], v[13:14]
	v_add_f64 v[108:109], v[108:109], v[124:125]
	v_fma_f64 v[124:125], v[67:68], s[2:3], v[13:14]
	v_add_f64 v[13:14], v[132:133], v[136:137]
	v_add_f64 v[67:68], v[134:135], -v[138:139]
	v_fma_f64 v[126:127], v[17:18], s[12:13], v[15:16]
	v_fma_f64 v[130:131], v[17:18], s[2:3], v[15:16]
	v_add_f64 v[15:16], v[134:135], v[138:139]
	v_add_f64 v[17:18], v[118:119], v[134:135]
	v_fma_f64 v[13:14], v[13:14], -0.5, v[116:117]
	v_add_f64 v[116:117], v[65:66], v[136:137]
	s_delay_alu instid0(VALU_DEP_4) | instskip(NEXT) | instid1(VALU_DEP_4)
	v_fma_f64 v[15:16], v[15:16], -0.5, v[118:119]
	v_add_f64 v[118:119], v[17:18], v[138:139]
	v_add_f64 v[17:18], v[132:133], -v[136:137]
	v_fma_f64 v[132:133], v[67:68], s[2:3], v[13:14]
	v_fma_f64 v[136:137], v[67:68], s[12:13], v[13:14]
	v_lshrrev_b32_e32 v13, 5, v140
	s_delay_alu instid0(VALU_DEP_1) | instskip(SKIP_2) | instid1(VALU_DEP_3)
	v_mul_u32_u24_e32 v13, 0x60, v13
	v_fma_f64 v[138:139], v[17:18], s[2:3], v[15:16]
	v_fma_f64 v[134:135], v[17:18], s[12:13], v[15:16]
	v_or_b32_e32 v13, v13, v0
	s_delay_alu instid0(VALU_DEP_1)
	v_lshl_add_u32 v13, v13, 4, v71
	ds_store_b128 v13, v[9:12]
	ds_store_b128 v13, v[25:28] offset:512
	v_lshrrev_b32_e32 v9, 5, v8
	scratch_store_b32 off, v13, off offset:500 ; 4-byte Folded Spill
	ds_store_b128 v13, v[29:32] offset:1024
	v_mul_u32_u24_e32 v9, 0x60, v9
	s_delay_alu instid0(VALU_DEP_1) | instskip(NEXT) | instid1(VALU_DEP_1)
	v_or_b32_e32 v3, v9, v3
	v_lshl_add_u32 v3, v3, 4, v71
	ds_store_b128 v3, v[21:24]
	ds_store_b128 v3, v[33:36] offset:512
	scratch_store_b32 off, v3, off offset:620 ; 4-byte Folded Spill
	ds_store_b128 v3, v[37:40] offset:1024
	v_lshrrev_b32_e32 v3, 5, v20
	s_delay_alu instid0(VALU_DEP_1) | instskip(NEXT) | instid1(VALU_DEP_1)
	v_mul_u32_u24_e32 v3, 0x60, v3
	v_or_b32_e32 v3, v3, v0
	s_delay_alu instid0(VALU_DEP_1)
	v_lshl_add_u32 v3, v3, 4, v71
	ds_store_b128 v3, v[41:44]
	ds_store_b128 v3, v[49:52] offset:512
	scratch_store_b32 off, v3, off offset:616 ; 4-byte Folded Spill
	ds_store_b128 v3, v[53:56] offset:1024
	v_lshrrev_b32_e32 v3, 5, v7
	s_delay_alu instid0(VALU_DEP_1) | instskip(NEXT) | instid1(VALU_DEP_1)
	v_mul_u32_u24_e32 v3, 0x60, v3
	v_or_b32_e32 v2, v3, v2
	v_and_b32_e32 v3, 0xff, v8
	s_delay_alu instid0(VALU_DEP_2)
	v_lshl_add_u32 v2, v2, 4, v71
	ds_store_b128 v2, v[45:48]
	ds_store_b128 v2, v[57:60] offset:512
	scratch_store_b32 off, v2, off offset:612 ; 4-byte Folded Spill
	ds_store_b128 v2, v[61:64] offset:1024
	v_lshrrev_b32_e32 v2, 5, v6
	v_mul_lo_u16 v3, 0xab, v3
	s_delay_alu instid0(VALU_DEP_2) | instskip(NEXT) | instid1(VALU_DEP_2)
	v_mul_u32_u24_e32 v2, 0x60, v2
	v_lshrrev_b16 v3, 14, v3
	s_delay_alu instid0(VALU_DEP_2) | instskip(NEXT) | instid1(VALU_DEP_1)
	v_or_b32_e32 v0, v2, v0
	v_lshl_add_u32 v0, v0, 4, v71
	ds_store_b128 v0, v[108:111]
	ds_store_b128 v0, v[124:127] offset:512
	scratch_store_b32 off, v0, off offset:604 ; 4-byte Folded Spill
	ds_store_b128 v0, v[128:131] offset:1024
	v_lshrrev_b32_e32 v0, 5, v5
	s_delay_alu instid0(VALU_DEP_1) | instskip(NEXT) | instid1(VALU_DEP_1)
	v_mul_u32_u24_e32 v0, 0x60, v0
	v_or_b32_e32 v0, v0, v1
	s_delay_alu instid0(VALU_DEP_1)
	v_lshl_add_u32 v0, v0, 4, v71
	ds_store_b128 v0, v[116:119]
	ds_store_b128 v0, v[132:135] offset:512
	scratch_store_b32 off, v0, off offset:596 ; 4-byte Folded Spill
	ds_store_b128 v0, v[136:139] offset:1024
	v_add_co_u32 v0, s14, 0xffffffa0, v140
	s_delay_alu instid0(VALU_DEP_1) | instskip(SKIP_2) | instid1(VALU_DEP_2)
	v_add_co_ci_u32_e64 v1, null, 0, -1, s14
	s_waitcnt lgkmcnt(0)
	s_waitcnt_vscnt null, 0x0
	v_cndmask_b32_e32 v0, v0, v140, vcc_lo
	s_barrier
	v_cndmask_b32_e64 v1, v1, 0, vcc_lo
	buffer_gl0_inv
	v_lshlrev_b64 v[1:2], 5, v[0:1]
	s_delay_alu instid0(VALU_DEP_1) | instskip(NEXT) | instid1(VALU_DEP_2)
	v_add_co_u32 v1, vcc_lo, s10, v1
	v_add_co_ci_u32_e32 v2, vcc_lo, s11, v2, vcc_lo
	s_clause 0x1
	global_load_b128 v[13:16], v[1:2], off offset:1504
	global_load_b128 v[124:127], v[1:2], off offset:1520
	ds_load_b128 v[9:12], v70 offset:10752
	ds_load_b128 v[21:24], v70 offset:12544
	v_cmp_lt_u16_e32 vcc_lo, 0x5f, v4
	s_waitcnt vmcnt(1) lgkmcnt(1)
	v_mul_f64 v[1:2], v[11:12], v[15:16]
	scratch_store_b128 off, v[13:16], off offset:512 ; 16-byte Folded Spill
	v_fma_f64 v[1:2], v[9:10], v[13:14], -v[1:2]
	v_mul_f64 v[9:10], v[9:10], v[15:16]
	s_delay_alu instid0(VALU_DEP_1) | instskip(SKIP_4) | instid1(VALU_DEP_1)
	v_fma_f64 v[16:17], v[11:12], v[13:14], v[9:10]
	ds_load_b128 v[9:12], v70 offset:21504
	ds_load_b128 v[25:28], v70 offset:23296
	s_waitcnt vmcnt(0) lgkmcnt(1)
	v_mul_f64 v[13:14], v[11:12], v[126:127]
	v_fma_f64 v[18:19], v[9:10], v[124:125], -v[13:14]
	v_mul_f64 v[9:10], v[9:10], v[126:127]
	s_delay_alu instid0(VALU_DEP_1) | instskip(SKIP_1) | instid1(VALU_DEP_1)
	v_fma_f64 v[29:30], v[11:12], v[124:125], v[9:10]
	v_mul_lo_u16 v9, 0x60, v3
	v_sub_nc_u16 v8, v8, v9
	s_delay_alu instid0(VALU_DEP_1) | instskip(NEXT) | instid1(VALU_DEP_1)
	v_and_b32_e32 v69, 0xff, v8
	v_lshlrev_b32_e32 v8, 5, v69
	s_clause 0x1
	global_load_b128 v[140:143], v8, s[10:11] offset:1504
	global_load_b128 v[128:131], v8, s[10:11] offset:1520
	s_waitcnt vmcnt(1)
	v_mul_f64 v[8:9], v[23:24], v[142:143]
	s_delay_alu instid0(VALU_DEP_1) | instskip(SKIP_1) | instid1(VALU_DEP_1)
	v_fma_f64 v[31:32], v[21:22], v[140:141], -v[8:9]
	v_mul_f64 v[8:9], v[21:22], v[142:143]
	v_fma_f64 v[33:34], v[23:24], v[140:141], v[8:9]
	s_waitcnt vmcnt(0) lgkmcnt(0)
	v_mul_f64 v[8:9], v[27:28], v[130:131]
	s_delay_alu instid0(VALU_DEP_1) | instskip(SKIP_1) | instid1(VALU_DEP_1)
	v_fma_f64 v[35:36], v[25:26], v[128:129], -v[8:9]
	v_mul_f64 v[8:9], v[25:26], v[130:131]
	v_fma_f64 v[37:38], v[27:28], v[128:129], v[8:9]
	v_and_b32_e32 v8, 0xffff, v20
	s_delay_alu instid0(VALU_DEP_1) | instskip(NEXT) | instid1(VALU_DEP_1)
	v_mul_u32_u24_e32 v8, 0xaaab, v8
	v_lshrrev_b32_e32 v96, 22, v8
	s_delay_alu instid0(VALU_DEP_1) | instskip(NEXT) | instid1(VALU_DEP_1)
	v_mul_lo_u16 v8, 0x60, v96
	v_sub_nc_u16 v97, v20, v8
	s_delay_alu instid0(VALU_DEP_1) | instskip(NEXT) | instid1(VALU_DEP_1)
	v_lshlrev_b16 v8, 5, v97
	v_and_b32_e32 v8, 0xffff, v8
	s_delay_alu instid0(VALU_DEP_1) | instskip(NEXT) | instid1(VALU_DEP_1)
	v_add_co_u32 v8, s14, s10, v8
	v_add_co_ci_u32_e64 v9, null, s11, 0, s14
	s_clause 0x1
	global_load_b128 v[136:139], v[8:9], off offset:1504
	global_load_b128 v[132:135], v[8:9], off offset:1520
	ds_load_b128 v[8:11], v70 offset:14336
	ds_load_b128 v[12:15], v70 offset:16128
	s_waitcnt vmcnt(1) lgkmcnt(1)
	v_mul_f64 v[21:22], v[10:11], v[138:139]
	s_delay_alu instid0(VALU_DEP_1) | instskip(SKIP_1) | instid1(VALU_DEP_1)
	v_fma_f64 v[45:46], v[8:9], v[136:137], -v[21:22]
	v_mul_f64 v[8:9], v[8:9], v[138:139]
	v_fma_f64 v[47:48], v[10:11], v[136:137], v[8:9]
	ds_load_b128 v[8:11], v70 offset:25088
	ds_load_b128 v[21:24], v70 offset:26880
	s_waitcnt vmcnt(0) lgkmcnt(1)
	v_mul_f64 v[25:26], v[10:11], v[134:135]
	s_delay_alu instid0(VALU_DEP_1) | instskip(SKIP_1) | instid1(VALU_DEP_1)
	v_fma_f64 v[49:50], v[8:9], v[132:133], -v[25:26]
	v_mul_f64 v[8:9], v[8:9], v[134:135]
	v_fma_f64 v[51:52], v[10:11], v[132:133], v[8:9]
	v_and_b32_e32 v8, 0xffff, v7
	s_delay_alu instid0(VALU_DEP_1) | instskip(NEXT) | instid1(VALU_DEP_1)
	v_mul_u32_u24_e32 v8, 0xaaab, v8
	v_lshrrev_b32_e32 v98, 22, v8
	s_delay_alu instid0(VALU_DEP_1) | instskip(NEXT) | instid1(VALU_DEP_1)
	v_mul_lo_u16 v8, 0x60, v98
	v_sub_nc_u16 v99, v7, v8
	s_delay_alu instid0(VALU_DEP_1) | instskip(NEXT) | instid1(VALU_DEP_1)
	v_lshlrev_b16 v7, 5, v99
	v_and_b32_e32 v7, 0xffff, v7
	s_delay_alu instid0(VALU_DEP_1) | instskip(NEXT) | instid1(VALU_DEP_1)
	v_add_co_u32 v7, s14, s10, v7
	v_add_co_ci_u32_e64 v8, null, s11, 0, s14
	s_clause 0x1
	global_load_b128 v[148:151], v[7:8], off offset:1504
	global_load_b128 v[144:147], v[7:8], off offset:1520
	s_waitcnt vmcnt(1)
	v_mul_f64 v[7:8], v[14:15], v[150:151]
	s_delay_alu instid0(VALU_DEP_1) | instskip(SKIP_1) | instid1(VALU_DEP_1)
	v_fma_f64 v[53:54], v[12:13], v[148:149], -v[7:8]
	v_mul_f64 v[7:8], v[12:13], v[150:151]
	v_fma_f64 v[14:15], v[14:15], v[148:149], v[7:8]
	s_waitcnt vmcnt(0) lgkmcnt(0)
	v_mul_f64 v[7:8], v[23:24], v[146:147]
	s_delay_alu instid0(VALU_DEP_1) | instskip(SKIP_1) | instid1(VALU_DEP_1)
	v_fma_f64 v[55:56], v[21:22], v[144:145], -v[7:8]
	v_mul_f64 v[7:8], v[21:22], v[146:147]
	v_fma_f64 v[57:58], v[23:24], v[144:145], v[7:8]
	v_and_b32_e32 v7, 0xffff, v6
	s_delay_alu instid0(VALU_DEP_1) | instskip(NEXT) | instid1(VALU_DEP_1)
	v_mul_u32_u24_e32 v7, 0xaaab, v7
	v_lshrrev_b32_e32 v100, 22, v7
	s_delay_alu instid0(VALU_DEP_1) | instskip(NEXT) | instid1(VALU_DEP_1)
	v_mul_lo_u16 v7, 0x60, v100
	v_sub_nc_u16 v101, v6, v7
	s_delay_alu instid0(VALU_DEP_1) | instskip(NEXT) | instid1(VALU_DEP_1)
	v_lshlrev_b16 v6, 5, v101
	v_and_b32_e32 v6, 0xffff, v6
	s_delay_alu instid0(VALU_DEP_1) | instskip(NEXT) | instid1(VALU_DEP_1)
	v_add_co_u32 v6, s14, s10, v6
	v_add_co_ci_u32_e64 v7, null, s11, 0, s14
	s_clause 0x1
	global_load_b128 v[152:155], v[6:7], off offset:1504
	global_load_b128 v[160:163], v[6:7], off offset:1520
	ds_load_b128 v[6:9], v70 offset:17920
	ds_load_b128 v[10:13], v70 offset:19712
	s_waitcnt vmcnt(1) lgkmcnt(1)
	v_mul_f64 v[21:22], v[8:9], v[154:155]
	s_delay_alu instid0(VALU_DEP_1) | instskip(SKIP_1) | instid1(VALU_DEP_1)
	v_fma_f64 v[65:66], v[6:7], v[152:153], -v[21:22]
	v_mul_f64 v[6:7], v[6:7], v[154:155]
	v_fma_f64 v[67:68], v[8:9], v[152:153], v[6:7]
	ds_load_b128 v[6:9], v70 offset:28672
	ds_load_b128 v[21:24], v70 offset:30464
	s_waitcnt vmcnt(0) lgkmcnt(1)
	v_mul_f64 v[25:26], v[8:9], v[162:163]
	s_delay_alu instid0(VALU_DEP_1) | instskip(SKIP_1) | instid1(VALU_DEP_1)
	v_fma_f64 v[164:165], v[6:7], v[160:161], -v[25:26]
	v_mul_f64 v[6:7], v[6:7], v[162:163]
	v_fma_f64 v[166:167], v[8:9], v[160:161], v[6:7]
	v_and_b32_e32 v6, 0xffff, v5
	s_delay_alu instid0(VALU_DEP_1) | instskip(NEXT) | instid1(VALU_DEP_1)
	v_mul_u32_u24_e32 v6, 0xaaab, v6
	v_lshrrev_b32_e32 v102, 22, v6
	s_delay_alu instid0(VALU_DEP_1) | instskip(NEXT) | instid1(VALU_DEP_1)
	v_mul_lo_u16 v6, 0x60, v102
	v_sub_nc_u16 v103, v5, v6
	s_delay_alu instid0(VALU_DEP_1) | instskip(NEXT) | instid1(VALU_DEP_1)
	v_lshlrev_b16 v5, 5, v103
	v_and_b32_e32 v5, 0xffff, v5
	s_delay_alu instid0(VALU_DEP_1) | instskip(NEXT) | instid1(VALU_DEP_1)
	v_add_co_u32 v5, s14, s10, v5
	v_add_co_ci_u32_e64 v6, null, s11, 0, s14
	s_clause 0x1
	global_load_b128 v[184:187], v[5:6], off offset:1504
	global_load_b128 v[116:119], v[5:6], off offset:1520
	s_waitcnt vmcnt(1)
	v_mul_f64 v[5:6], v[12:13], v[186:187]
	s_delay_alu instid0(VALU_DEP_1) | instskip(SKIP_1) | instid1(VALU_DEP_1)
	v_fma_f64 v[172:173], v[10:11], v[184:185], -v[5:6]
	v_mul_f64 v[5:6], v[10:11], v[186:187]
	v_fma_f64 v[168:169], v[12:13], v[184:185], v[5:6]
	s_waitcnt vmcnt(0) lgkmcnt(0)
	v_mul_f64 v[5:6], v[23:24], v[118:119]
	s_delay_alu instid0(VALU_DEP_1) | instskip(SKIP_2) | instid1(VALU_DEP_2)
	v_fma_f64 v[174:175], v[21:22], v[116:117], -v[5:6]
	v_mul_f64 v[5:6], v[21:22], v[118:119]
	v_add_f64 v[21:22], v[1:2], v[18:19]
	v_fma_f64 v[170:171], v[23:24], v[116:117], v[5:6]
	ds_load_b128 v[5:8], v70
	ds_load_b128 v[9:12], v70 offset:1792
	s_waitcnt lgkmcnt(1)
	v_fma_f64 v[23:24], v[21:22], -0.5, v[5:6]
	v_add_f64 v[21:22], v[16:17], v[29:30]
	v_add_f64 v[5:6], v[5:6], v[1:2]
	v_add_f64 v[1:2], v[1:2], -v[18:19]
	s_delay_alu instid0(VALU_DEP_3) | instskip(SKIP_4) | instid1(VALU_DEP_4)
	v_fma_f64 v[27:28], v[21:22], -0.5, v[7:8]
	v_add_f64 v[7:8], v[7:8], v[16:17]
	v_add_f64 v[16:17], v[16:17], -v[29:30]
	v_add_f64 v[5:6], v[5:6], v[18:19]
	v_add_f64 v[18:19], v[33:34], -v[37:38]
	v_add_f64 v[7:8], v[7:8], v[29:30]
	s_delay_alu instid0(VALU_DEP_4)
	v_fma_f64 v[21:22], v[16:17], s[2:3], v[23:24]
	v_fma_f64 v[25:26], v[16:17], s[12:13], v[23:24]
	;; [unrolled: 1-line block ×4, first 2 shown]
	v_add_f64 v[1:2], v[31:32], v[35:36]
	v_add_f64 v[16:17], v[33:34], v[37:38]
	s_waitcnt lgkmcnt(0)
	s_delay_alu instid0(VALU_DEP_2) | instskip(SKIP_1) | instid1(VALU_DEP_3)
	v_fma_f64 v[1:2], v[1:2], -0.5, v[9:10]
	v_add_f64 v[9:10], v[9:10], v[31:32]
	v_fma_f64 v[16:17], v[16:17], -0.5, v[11:12]
	v_add_f64 v[11:12], v[11:12], v[33:34]
	s_delay_alu instid0(VALU_DEP_4) | instskip(NEXT) | instid1(VALU_DEP_4)
	v_fma_f64 v[29:30], v[18:19], s[2:3], v[1:2]
	v_add_f64 v[9:10], v[9:10], v[35:36]
	v_add_f64 v[35:36], v[31:32], -v[35:36]
	v_fma_f64 v[33:34], v[18:19], s[12:13], v[1:2]
	v_add_f64 v[1:2], v[45:46], v[49:50]
	v_add_f64 v[11:12], v[11:12], v[37:38]
	ds_load_b128 v[37:40], v70 offset:3584
	ds_load_b128 v[41:44], v70 offset:5376
	;; [unrolled: 1-line block ×4, first 2 shown]
	s_waitcnt lgkmcnt(0)
	s_waitcnt_vscnt null, 0x0
	s_barrier
	buffer_gl0_inv
	v_add_f64 v[18:19], v[39:40], v[47:48]
	v_fma_f64 v[31:32], v[35:36], s[12:13], v[16:17]
	v_fma_f64 v[35:36], v[35:36], s[2:3], v[16:17]
	v_fma_f64 v[1:2], v[1:2], -0.5, v[37:38]
	v_add_f64 v[16:17], v[47:48], v[51:52]
	v_add_f64 v[37:38], v[37:38], v[45:46]
	v_add_f64 v[47:48], v[47:48], -v[51:52]
	s_delay_alu instid0(VALU_DEP_3) | instskip(SKIP_1) | instid1(VALU_DEP_4)
	v_fma_f64 v[16:17], v[16:17], -0.5, v[39:40]
	v_add_f64 v[39:40], v[18:19], v[51:52]
	v_add_f64 v[37:38], v[37:38], v[49:50]
	v_add_f64 v[18:19], v[45:46], -v[49:50]
	v_fma_f64 v[45:46], v[47:48], s[2:3], v[1:2]
	v_fma_f64 v[49:50], v[47:48], s[12:13], v[1:2]
	v_add_f64 v[1:2], v[53:54], v[55:56]
	s_delay_alu instid0(VALU_DEP_4) | instskip(SKIP_2) | instid1(VALU_DEP_4)
	v_fma_f64 v[47:48], v[18:19], s[12:13], v[16:17]
	v_fma_f64 v[51:52], v[18:19], s[2:3], v[16:17]
	v_add_f64 v[16:17], v[14:15], v[57:58]
	v_fma_f64 v[1:2], v[1:2], -0.5, v[41:42]
	v_add_f64 v[18:19], v[43:44], v[14:15]
	v_add_f64 v[13:14], v[14:15], -v[57:58]
	v_add_f64 v[41:42], v[41:42], v[53:54]
	v_fma_f64 v[16:17], v[16:17], -0.5, v[43:44]
	s_delay_alu instid0(VALU_DEP_4)
	v_add_f64 v[43:44], v[18:19], v[57:58]
	v_add_f64 v[18:19], v[53:54], -v[55:56]
	v_fma_f64 v[53:54], v[13:14], s[2:3], v[1:2]
	v_fma_f64 v[57:58], v[13:14], s[12:13], v[1:2]
	v_add_f64 v[1:2], v[65:66], v[164:165]
	v_add_f64 v[41:42], v[41:42], v[55:56]
	v_add_f64 v[13:14], v[67:68], v[166:167]
	v_fma_f64 v[55:56], v[18:19], s[12:13], v[16:17]
	v_fma_f64 v[59:60], v[18:19], s[2:3], v[16:17]
	v_add_f64 v[15:16], v[63:64], v[67:68]
	v_fma_f64 v[1:2], v[1:2], -0.5, v[61:62]
	v_add_f64 v[17:18], v[61:62], v[65:66]
	v_add_f64 v[67:68], v[67:68], -v[166:167]
	v_fma_f64 v[13:14], v[13:14], -0.5, v[63:64]
	v_add_f64 v[63:64], v[15:16], v[166:167]
	v_add_f64 v[15:16], v[65:66], -v[164:165]
	v_add_f64 v[61:62], v[17:18], v[164:165]
	v_fma_f64 v[164:165], v[67:68], s[2:3], v[1:2]
	v_fma_f64 v[236:237], v[67:68], s[12:13], v[1:2]
	v_add_f64 v[1:2], v[172:173], v[174:175]
	v_add_f64 v[65:66], v[168:169], -v[170:171]
	v_add_f64 v[17:18], v[156:157], v[172:173]
	v_fma_f64 v[166:167], v[15:16], s[12:13], v[13:14]
	v_fma_f64 v[238:239], v[15:16], s[2:3], v[13:14]
	v_add_f64 v[13:14], v[168:169], v[170:171]
	v_add_f64 v[15:16], v[158:159], v[168:169]
	v_fma_f64 v[1:2], v[1:2], -0.5, v[156:157]
	v_add_f64 v[168:169], v[17:18], v[174:175]
	s_delay_alu instid0(VALU_DEP_4) | instskip(NEXT) | instid1(VALU_DEP_4)
	v_fma_f64 v[13:14], v[13:14], -0.5, v[158:159]
	v_add_f64 v[170:171], v[15:16], v[170:171]
	s_delay_alu instid0(VALU_DEP_4) | instskip(SKIP_4) | instid1(VALU_DEP_3)
	v_fma_f64 v[176:177], v[65:66], s[2:3], v[1:2]
	v_fma_f64 v[248:249], v[65:66], s[12:13], v[1:2]
	v_cndmask_b32_e64 v1, 0, 0x120, vcc_lo
	v_add_f64 v[15:16], v[172:173], -v[174:175]
	v_cmp_gt_u16_e32 vcc_lo, 64, v4
	v_add_nc_u32_e32 v0, v0, v1
	s_delay_alu instid0(VALU_DEP_1)
	v_lshl_add_u32 v0, v0, 4, v71
	ds_store_b128 v0, v[5:8]
	ds_store_b128 v0, v[21:24] offset:1536
	scratch_store_b32 off, v0, off offset:608 ; 4-byte Folded Spill
	ds_store_b128 v0, v[25:28] offset:3072
	v_and_b32_e32 v0, 0xffff, v3
                                        ; implicit-def: $vgpr4_vgpr5
	s_delay_alu instid0(VALU_DEP_1) | instskip(NEXT) | instid1(VALU_DEP_1)
	v_mul_u32_u24_e32 v0, 0x120, v0
	v_add_nc_u32_e32 v0, v0, v69
	s_delay_alu instid0(VALU_DEP_1)
	v_lshl_add_u32 v0, v0, 4, v71
	ds_store_b128 v0, v[9:12]
	ds_store_b128 v0, v[29:32] offset:1536
	scratch_store_b32 off, v0, off offset:580 ; 4-byte Folded Spill
	ds_store_b128 v0, v[33:36] offset:3072
	v_mad_u16 v0, 0x120, v96, v97
	v_fma_f64 v[250:251], v[15:16], s[2:3], v[13:14]
	v_fma_f64 v[178:179], v[15:16], s[12:13], v[13:14]
	s_load_b64 s[2:3], s[0:1], 0x38
	s_delay_alu instid0(VALU_DEP_3) | instskip(NEXT) | instid1(VALU_DEP_1)
	v_and_b32_e32 v0, 0xffff, v0
	v_lshl_add_u32 v0, v0, 4, v71
	ds_store_b128 v0, v[37:40]
	ds_store_b128 v0, v[45:48] offset:1536
	scratch_store_b32 off, v0, off offset:584 ; 4-byte Folded Spill
	ds_store_b128 v0, v[49:52] offset:3072
	v_mad_u16 v0, 0x120, v98, v99
	s_delay_alu instid0(VALU_DEP_1) | instskip(NEXT) | instid1(VALU_DEP_1)
	v_and_b32_e32 v0, 0xffff, v0
	v_lshl_add_u32 v0, v0, 4, v71
	ds_store_b128 v0, v[41:44]
	ds_store_b128 v0, v[53:56] offset:1536
	scratch_store_b32 off, v0, off offset:588 ; 4-byte Folded Spill
	ds_store_b128 v0, v[57:60] offset:3072
	v_mad_u16 v0, 0x120, v100, v101
	s_delay_alu instid0(VALU_DEP_1) | instskip(NEXT) | instid1(VALU_DEP_1)
	v_and_b32_e32 v0, 0xffff, v0
	v_lshl_add_u32 v2, v0, 4, v71
	v_mad_u16 v0, 0x120, v102, v103
	ds_store_b128 v2, v[61:64]
	ds_store_b128 v2, v[164:167] offset:1536
	v_and_b32_e32 v0, 0xffff, v0
	scratch_store_b32 off, v2, off offset:592 ; 4-byte Folded Spill
	v_lshl_add_u32 v3, v0, 4, v71
	ds_store_b128 v2, v[236:239] offset:3072
	ds_store_b128 v3, v[168:171]
	ds_store_b128 v3, v[176:179] offset:1536
	scratch_store_b32 off, v3, off offset:600 ; 4-byte Folded Spill
	ds_store_b128 v3, v[248:251] offset:3072
	s_waitcnt lgkmcnt(0)
	s_waitcnt_vscnt null, 0x0
	s_barrier
	buffer_gl0_inv
	ds_load_b128 v[244:247], v70
	ds_load_b128 v[240:243], v70 offset:1792
	ds_load_b128 v[196:199], v70 offset:4608
	ds_load_b128 v[220:223], v70 offset:6400
	ds_load_b128 v[204:207], v70 offset:9216
	ds_load_b128 v[228:231], v70 offset:11008
	ds_load_b128 v[180:183], v70 offset:13824
	ds_load_b128 v[164:167], v70 offset:15616
	ds_load_b128 v[172:175], v70 offset:18432
	ds_load_b128 v[156:159], v70 offset:20224
	ds_load_b128 v[212:215], v70 offset:23040
	ds_load_b128 v[8:11], v70 offset:24832
	ds_load_b128 v[216:219], v70 offset:27648
	ds_load_b128 v[12:15], v70 offset:29440
                                        ; implicit-def: $vgpr0_vgpr1
	s_and_saveexec_b32 s0, vcc_lo
	s_cbranch_execz .LBB0_3
; %bb.2:
	ds_load_b128 v[236:239], v70 offset:3584
	ds_load_b128 v[168:171], v70 offset:8192
	;; [unrolled: 1-line block ×7, first 2 shown]
.LBB0_3:
	s_or_b32 exec_lo, exec_lo, s0
	v_mad_u64_u32 v[16:17], null, 0x60, v112, s[10:11]
	s_mov_b32 s16, 0xe976ee23
	s_mov_b32 s17, 0xbfe11646
	;; [unrolled: 1-line block ×6, first 2 shown]
	s_delay_alu instid0(VALU_DEP_1) | instskip(NEXT) | instid1(VALU_DEP_1)
	v_add_co_u32 v18, s0, 0x1000, v16
	v_add_co_ci_u32_e64 v19, s0, 0, v17, s0
	v_add_co_u32 v21, s0, 0x11e0, v16
	s_delay_alu instid0(VALU_DEP_1)
	v_add_co_ci_u32_e64 v22, s0, 0, v17, s0
	s_mov_b32 s18, 0x37c3f68c
	s_clause 0x1
	global_load_b128 v[188:191], v[18:19], off offset:480
	global_load_b128 v[192:195], v[21:22], off offset:48
	s_mov_b32 s19, 0x3fdc38aa
	s_mov_b32 s20, 0x37e14327
	;; [unrolled: 1-line block ×9, first 2 shown]
	s_waitcnt vmcnt(1) lgkmcnt(11)
	v_mul_f64 v[23:24], v[198:199], v[190:191]
	s_delay_alu instid0(VALU_DEP_1) | instskip(SKIP_1) | instid1(VALU_DEP_1)
	v_fma_f64 v[52:53], v[196:197], v[188:189], -v[23:24]
	v_mul_f64 v[23:24], v[196:197], v[190:191]
	v_fma_f64 v[54:55], v[198:199], v[188:189], v[23:24]
	s_clause 0x1
	global_load_b128 v[200:203], v[21:22], off offset:16
	global_load_b128 v[196:199], v[21:22], off offset:32
	s_waitcnt vmcnt(1) lgkmcnt(9)
	v_mul_f64 v[21:22], v[206:207], v[202:203]
	s_delay_alu instid0(VALU_DEP_1) | instskip(SKIP_1) | instid1(VALU_DEP_1)
	v_fma_f64 v[56:57], v[204:205], v[200:201], -v[21:22]
	v_mul_f64 v[21:22], v[204:205], v[202:203]
	v_fma_f64 v[58:59], v[206:207], v[200:201], v[21:22]
	v_add_co_u32 v21, s0, 0x1220, v16
	s_delay_alu instid0(VALU_DEP_1)
	v_add_co_ci_u32_e64 v22, s0, 0, v17, s0
	s_clause 0x1
	global_load_b128 v[208:211], v[21:22], off offset:16
	global_load_b128 v[204:207], v[18:19], off offset:544
	s_waitcnt vmcnt(1) lgkmcnt(1)
	v_mul_f64 v[18:19], v[218:219], v[210:211]
	s_delay_alu instid0(VALU_DEP_1) | instskip(SKIP_1) | instid1(VALU_DEP_1)
	v_fma_f64 v[60:61], v[216:217], v[208:209], -v[18:19]
	v_mul_f64 v[18:19], v[216:217], v[210:211]
	v_fma_f64 v[62:63], v[218:219], v[208:209], v[18:19]
	s_waitcnt vmcnt(0)
	v_mul_f64 v[18:19], v[214:215], v[206:207]
	s_delay_alu instid0(VALU_DEP_1) | instskip(SKIP_1) | instid1(VALU_DEP_1)
	v_fma_f64 v[64:65], v[212:213], v[204:205], -v[18:19]
	v_mul_f64 v[18:19], v[212:213], v[206:207]
	v_fma_f64 v[66:67], v[214:215], v[204:205], v[18:19]
	v_add_co_u32 v18, s0, 0x3000, v16
	s_delay_alu instid0(VALU_DEP_1) | instskip(SKIP_1) | instid1(VALU_DEP_1)
	v_add_co_ci_u32_e64 v19, s0, 0, v17, s0
	v_add_co_u32 v21, s0, 0x3be0, v16
	v_add_co_ci_u32_e64 v22, s0, 0, v17, s0
	s_clause 0x1
	global_load_b128 v[212:215], v[18:19], off offset:3040
	global_load_b128 v[216:219], v[21:22], off offset:48
	v_add_co_u32 v16, s0, 0x3c20, v16
	s_delay_alu instid0(VALU_DEP_1) | instskip(SKIP_2) | instid1(VALU_DEP_1)
	v_add_co_ci_u32_e64 v17, s0, 0, v17, s0
	s_waitcnt vmcnt(1)
	v_mul_f64 v[23:24], v[222:223], v[214:215]
	v_fma_f64 v[28:29], v[220:221], v[212:213], -v[23:24]
	v_mul_f64 v[23:24], v[220:221], v[214:215]
	s_delay_alu instid0(VALU_DEP_1)
	v_fma_f64 v[30:31], v[222:223], v[212:213], v[23:24]
	s_clause 0x1
	global_load_b128 v[224:227], v[21:22], off offset:16
	global_load_b128 v[220:223], v[21:22], off offset:32
	s_waitcnt vmcnt(1)
	v_mul_f64 v[21:22], v[230:231], v[226:227]
	s_delay_alu instid0(VALU_DEP_1) | instskip(SKIP_1) | instid1(VALU_DEP_1)
	v_fma_f64 v[32:33], v[228:229], v[224:225], -v[21:22]
	v_mul_f64 v[21:22], v[228:229], v[226:227]
	v_fma_f64 v[34:35], v[230:231], v[224:225], v[21:22]
	s_clause 0x1
	global_load_b128 v[232:235], v[16:17], off offset:16
	global_load_b128 v[228:231], v[18:19], off offset:3104
	s_waitcnt vmcnt(1) lgkmcnt(0)
	v_mul_f64 v[16:17], v[14:15], v[234:235]
	s_delay_alu instid0(VALU_DEP_1) | instskip(SKIP_1) | instid1(VALU_DEP_1)
	v_fma_f64 v[36:37], v[12:13], v[232:233], -v[16:17]
	v_mul_f64 v[12:13], v[12:13], v[234:235]
	v_fma_f64 v[38:39], v[14:15], v[232:233], v[12:13]
	s_waitcnt vmcnt(0)
	v_mul_f64 v[12:13], v[10:11], v[230:231]
	s_delay_alu instid0(VALU_DEP_1) | instskip(SKIP_1) | instid1(VALU_DEP_1)
	v_fma_f64 v[40:41], v[8:9], v[228:229], -v[12:13]
	v_mul_f64 v[8:9], v[8:9], v[230:231]
	v_fma_f64 v[42:43], v[10:11], v[228:229], v[8:9]
	v_mul_f64 v[8:9], v[182:183], v[198:199]
	s_delay_alu instid0(VALU_DEP_1) | instskip(SKIP_1) | instid1(VALU_DEP_4)
	v_fma_f64 v[16:17], v[180:181], v[196:197], -v[8:9]
	v_mul_f64 v[8:9], v[180:181], v[198:199]
	v_add_f64 v[180:181], v[34:35], v[42:43]
	s_delay_alu instid0(VALU_DEP_2) | instskip(SKIP_1) | instid1(VALU_DEP_1)
	v_fma_f64 v[18:19], v[182:183], v[196:197], v[8:9]
	v_mul_f64 v[8:9], v[174:175], v[194:195]
	v_fma_f64 v[68:69], v[172:173], v[192:193], -v[8:9]
	v_mul_f64 v[8:9], v[172:173], v[194:195]
	s_delay_alu instid0(VALU_DEP_1) | instskip(SKIP_3) | instid1(VALU_DEP_3)
	v_fma_f64 v[172:173], v[174:175], v[192:193], v[8:9]
	v_mul_f64 v[8:9], v[166:167], v[222:223]
	v_add_f64 v[174:175], v[54:55], v[62:63]
	v_add_f64 v[62:63], v[54:55], -v[62:63]
	v_fma_f64 v[46:47], v[164:165], v[220:221], -v[8:9]
	v_mul_f64 v[8:9], v[164:165], v[222:223]
	v_add_f64 v[164:165], v[32:33], v[40:41]
	s_delay_alu instid0(VALU_DEP_2) | instskip(SKIP_1) | instid1(VALU_DEP_1)
	v_fma_f64 v[44:45], v[166:167], v[220:221], v[8:9]
	v_mul_f64 v[8:9], v[158:159], v[218:219]
	v_fma_f64 v[50:51], v[156:157], v[216:217], -v[8:9]
	v_mul_f64 v[8:9], v[156:157], v[218:219]
	v_add_f64 v[156:157], v[16:17], v[68:69]
	v_add_f64 v[16:17], v[68:69], -v[16:17]
	s_delay_alu instid0(VALU_DEP_4) | instskip(NEXT) | instid1(VALU_DEP_4)
	v_add_f64 v[166:167], v[46:47], v[50:51]
	v_fma_f64 v[48:49], v[158:159], v[216:217], v[8:9]
	v_subrev_nc_u32_e32 v8, 64, v112
	s_delay_alu instid0(VALU_DEP_1) | instskip(NEXT) | instid1(VALU_DEP_1)
	v_cndmask_b32_e32 v8, v8, v20, vcc_lo
	v_mul_i32_i24_e32 v9, 0x60, v8
	v_mul_hi_i32_i24_e32 v8, 0x60, v8
	s_delay_alu instid0(VALU_DEP_2) | instskip(NEXT) | instid1(VALU_DEP_1)
	v_add_co_u32 v22, s0, s10, v9
	v_add_co_ci_u32_e64 v23, s0, s11, v8, s0
	s_mov_b32 s10, 0x36b3c0b5
	s_delay_alu instid0(VALU_DEP_2) | instskip(NEXT) | instid1(VALU_DEP_1)
	v_add_co_u32 v20, s0, 0x1000, v22
	v_add_co_ci_u32_e64 v21, s0, 0, v23, s0
	v_add_co_u32 v12, s0, 0x11e0, v22
	s_delay_alu instid0(VALU_DEP_1) | instskip(SKIP_4) | instid1(VALU_DEP_1)
	v_add_co_ci_u32_e64 v13, s0, 0, v23, s0
	s_clause 0x1
	global_load_b128 v[24:27], v[20:21], off offset:480
	global_load_b128 v[96:99], v[12:13], off offset:48
	v_add_co_u32 v22, s0, 0x1220, v22
	v_add_co_ci_u32_e64 v23, s0, 0, v23, s0
	s_mov_b32 s11, 0x3fac98ee
	s_mov_b32 s0, 0xaaaaaaaa
	;; [unrolled: 1-line block ×3, first 2 shown]
	v_add_f64 v[182:183], v[44:45], v[48:49]
	s_waitcnt vmcnt(1)
	v_mul_f64 v[8:9], v[170:171], v[26:27]
	v_mul_f64 v[10:11], v[168:169], v[26:27]
	scratch_store_b128 off, v[24:27], off offset:624 ; 16-byte Folded Spill
	v_fma_f64 v[8:9], v[168:169], v[24:25], -v[8:9]
	v_fma_f64 v[10:11], v[170:171], v[24:25], v[10:11]
	s_clause 0x1
	global_load_b128 v[24:27], v[12:13], off offset:16
	global_load_b128 v[100:103], v[12:13], off offset:32
	v_add_f64 v[170:171], v[28:29], v[36:37]
	s_waitcnt vmcnt(1)
	v_mul_f64 v[12:13], v[178:179], v[26:27]
	scratch_store_b128 off, v[24:27], off offset:672 ; 16-byte Folded Spill
	v_fma_f64 v[14:15], v[176:177], v[24:25], -v[12:13]
	v_mul_f64 v[12:13], v[176:177], v[26:27]
	v_add_f64 v[176:177], v[164:165], v[170:171]
	s_delay_alu instid0(VALU_DEP_2)
	v_fma_f64 v[12:13], v[178:179], v[24:25], v[12:13]
	s_clause 0x1
	global_load_b128 v[104:107], v[22:23], off offset:16
	global_load_b128 v[24:27], v[20:21], off offset:544
	s_waitcnt vmcnt(2)
	s_clause 0x1
	scratch_store_b128 off, v[100:103], off offset:656
	scratch_store_b128 off, v[96:99], off offset:640
	v_add_f64 v[178:179], v[30:31], v[38:39]
	v_add_f64 v[176:177], v[166:167], v[176:177]
	s_delay_alu instid0(VALU_DEP_1)
	v_add_f64 v[240:241], v[240:241], v[176:177]
	s_waitcnt vmcnt(1)
	v_mul_f64 v[20:21], v[6:7], v[106:107]
	scratch_store_b128 off, v[104:107], off offset:704 ; 16-byte Folded Spill
	s_waitcnt vmcnt(0)
	scratch_store_b128 off, v[24:27], off offset:688 ; 16-byte Folded Spill
	v_fma_f64 v[20:21], v[4:5], v[104:105], -v[20:21]
	v_mul_f64 v[4:5], v[4:5], v[106:107]
	s_delay_alu instid0(VALU_DEP_1) | instskip(SKIP_1) | instid1(VALU_DEP_1)
	v_fma_f64 v[4:5], v[6:7], v[104:105], v[4:5]
	v_mul_f64 v[6:7], v[2:3], v[26:27]
	v_fma_f64 v[22:23], v[0:1], v[24:25], -v[6:7]
	v_mul_f64 v[0:1], v[0:1], v[26:27]
	s_delay_alu instid0(VALU_DEP_1) | instskip(SKIP_3) | instid1(VALU_DEP_3)
	v_fma_f64 v[6:7], v[2:3], v[24:25], v[0:1]
	v_mul_f64 v[0:1], v[250:251], v[102:103]
	v_add_f64 v[2:3], v[56:57], v[64:65]
	v_add_f64 v[56:57], v[56:57], -v[64:65]
	v_fma_f64 v[24:25], v[248:249], v[100:101], -v[0:1]
	v_mul_f64 v[0:1], v[248:249], v[102:103]
	s_delay_alu instid0(VALU_DEP_3) | instskip(NEXT) | instid1(VALU_DEP_2)
	v_add_f64 v[54:55], v[16:17], -v[56:57]
	v_fma_f64 v[248:249], v[250:251], v[100:101], v[0:1]
	v_mul_f64 v[0:1], v[254:255], v[98:99]
	s_delay_alu instid0(VALU_DEP_3) | instskip(NEXT) | instid1(VALU_DEP_2)
	v_mul_f64 v[100:101], v[54:55], s[16:17]
	v_fma_f64 v[250:251], v[252:253], v[96:97], -v[0:1]
	v_mul_f64 v[0:1], v[252:253], v[98:99]
	v_add_f64 v[252:253], v[58:59], v[66:67]
	v_add_f64 v[58:59], v[58:59], -v[66:67]
	s_delay_alu instid0(VALU_DEP_3) | instskip(SKIP_1) | instid1(VALU_DEP_4)
	v_fma_f64 v[26:27], v[254:255], v[96:97], v[0:1]
	v_add_f64 v[254:255], v[18:19], v[172:173]
	v_add_f64 v[168:169], v[252:253], v[174:175]
	;; [unrolled: 1-line block ×3, first 2 shown]
	v_add_f64 v[60:61], v[52:53], -v[60:61]
	v_add_f64 v[18:19], v[172:173], -v[18:19]
	;; [unrolled: 1-line block ×3, first 2 shown]
	v_add_f64 v[52:53], v[16:17], v[56:57]
	v_add_f64 v[96:97], v[180:181], v[178:179]
	v_add_f64 v[68:69], v[254:255], -v[252:253]
	v_add_f64 v[168:169], v[254:255], v[168:169]
	v_add_f64 v[158:159], v[2:3], v[0:1]
	v_add_f64 v[98:99], v[56:57], -v[60:61]
	v_add_f64 v[56:57], v[18:19], -v[58:59]
	v_add_f64 v[172:173], v[18:19], v[58:59]
	v_add_f64 v[104:105], v[52:53], v[60:61]
	v_add_f64 v[252:253], v[58:59], -v[62:63]
	v_add_f64 v[64:65], v[2:3], -v[0:1]
	;; [unrolled: 1-line block ×6, first 2 shown]
	v_add_f64 v[96:97], v[182:183], v[96:97]
	v_mul_f64 v[54:55], v[68:69], s[10:11]
	v_add_f64 v[246:247], v[246:247], v[168:169]
	v_add_f64 v[158:159], v[156:157], v[158:159]
	v_mul_f64 v[60:61], v[98:99], s[14:15]
	v_mul_f64 v[102:103], v[56:57], s[16:17]
	v_fma_f64 v[56:57], v[98:99], s[14:15], -v[100:101]
	v_add_f64 v[106:107], v[172:173], v[62:63]
	v_mul_f64 v[62:63], v[252:253], s[14:15]
	v_mul_f64 v[52:53], v[2:3], s[10:11]
	;; [unrolled: 1-line block ×3, first 2 shown]
	v_add_f64 v[242:243], v[242:243], v[96:97]
	v_fma_f64 v[54:55], v[66:67], s[12:13], -v[54:55]
	v_fma_f64 v[168:169], v[168:169], s[0:1], v[246:247]
	v_add_f64 v[244:245], v[244:245], v[158:159]
	v_fma_f64 v[60:61], v[16:17], s[26:27], -v[60:61]
	v_fma_f64 v[16:17], v[16:17], s[24:25], v[100:101]
	v_fma_f64 v[58:59], v[104:105], s[18:19], v[56:57]
	v_fma_f64 v[56:57], v[252:253], s[14:15], -v[102:103]
	v_fma_f64 v[62:63], v[18:19], s[26:27], -v[62:63]
	v_fma_f64 v[18:19], v[18:19], s[24:25], v[102:103]
	v_fma_f64 v[52:53], v[64:65], s[12:13], -v[52:53]
	v_fma_f64 v[64:65], v[64:65], s[22:23], -v[0:1]
	v_fma_f64 v[0:1], v[2:3], s[10:11], v[0:1]
	v_fma_f64 v[96:97], v[96:97], s[0:1], v[242:243]
	v_add_f64 v[108:109], v[54:55], v[168:169]
	v_fma_f64 v[158:159], v[158:159], s[0:1], v[244:245]
	v_fma_f64 v[56:57], v[106:107], s[18:19], v[56:57]
	;; [unrolled: 1-line block ×3, first 2 shown]
	s_delay_alu instid0(VALU_DEP_4)
	v_add_f64 v[54:55], v[58:59], v[108:109]
	v_add_f64 v[58:59], v[108:109], -v[58:59]
	v_add_f64 v[108:109], v[174:175], -v[254:255]
	v_add_f64 v[0:1], v[0:1], v[158:159]
	v_add_f64 v[64:65], v[64:65], v[158:159]
	;; [unrolled: 1-line block ×3, first 2 shown]
	s_delay_alu instid0(VALU_DEP_4) | instskip(SKIP_1) | instid1(VALU_DEP_4)
	v_mul_f64 v[98:99], v[108:109], s[20:21]
	v_fma_f64 v[108:109], v[104:105], s[18:19], v[60:61]
	v_add_f64 v[60:61], v[110:111], v[64:65]
	v_add_f64 v[64:65], v[64:65], -v[110:111]
	v_add_f64 v[52:53], v[172:173], -v[56:57]
	v_add_f64 v[56:57], v[56:57], v[172:173]
	v_fma_f64 v[2:3], v[68:69], s[10:11], v[98:99]
	v_fma_f64 v[68:69], v[104:105], s[18:19], v[16:17]
	;; [unrolled: 1-line block ×3, first 2 shown]
	v_fma_f64 v[66:67], v[66:67], s[22:23], -v[98:99]
	v_fma_f64 v[106:107], v[176:177], s[0:1], v[240:241]
	v_add_f64 v[2:3], v[2:3], v[168:169]
	s_delay_alu instid0(VALU_DEP_4)
	v_add_f64 v[252:253], v[16:17], v[0:1]
	v_add_f64 v[16:17], v[0:1], -v[16:17]
	v_add_f64 v[0:1], v[32:33], -v[40:41]
	;; [unrolled: 1-line block ×8, first 2 shown]
	v_add_f64 v[66:67], v[66:67], v[168:169]
	v_add_f64 v[254:255], v[2:3], -v[68:69]
	v_add_f64 v[18:19], v[68:69], v[2:3]
	v_add_f64 v[2:3], v[50:51], -v[46:47]
	v_add_f64 v[46:47], v[166:167], -v[164:165]
	;; [unrolled: 1-line block ×3, first 2 shown]
	v_mov_b32_e32 v164, v112
	v_add_f64 v[34:35], v[42:43], -v[32:33]
	v_add_f64 v[68:69], v[42:43], v[32:33]
	v_add_f64 v[98:99], v[32:33], -v[37:38]
	v_add_f64 v[156:157], v[37:38], -v[42:43]
	;; [unrolled: 1-line block ×3, first 2 shown]
	v_add_f64 v[66:67], v[108:109], v[66:67]
	v_add_f64 v[30:31], v[2:3], -v[0:1]
	v_add_f64 v[28:29], v[2:3], v[0:1]
	v_add_f64 v[0:1], v[0:1], -v[40:41]
	v_add_f64 v[2:3], v[40:41], -v[2:3]
	v_mul_f64 v[104:105], v[34:35], s[16:17]
	v_add_f64 v[68:69], v[68:69], v[37:38]
	v_mul_f64 v[37:38], v[98:99], s[14:15]
	v_mul_f64 v[102:103], v[30:31], s[16:17]
	v_add_f64 v[100:101], v[28:29], v[40:41]
	v_mul_f64 v[28:29], v[46:47], s[10:11]
	v_mul_f64 v[30:31], v[50:51], s[10:11]
	v_fma_f64 v[37:38], v[156:157], s[26:27], -v[37:38]
	v_fma_f64 v[32:33], v[0:1], s[14:15], -v[102:103]
	v_mul_f64 v[0:1], v[0:1], s[14:15]
	v_fma_f64 v[28:29], v[44:45], s[12:13], -v[28:29]
	v_fma_f64 v[30:31], v[48:49], s[12:13], -v[30:31]
	s_delay_alu instid0(VALU_DEP_4) | instskip(SKIP_1) | instid1(VALU_DEP_4)
	v_fma_f64 v[35:36], v[100:101], s[18:19], v[32:33]
	v_fma_f64 v[32:33], v[98:99], s[14:15], -v[104:105]
	v_add_f64 v[108:109], v[28:29], v[106:107]
	s_delay_alu instid0(VALU_DEP_4) | instskip(SKIP_1) | instid1(VALU_DEP_4)
	v_add_f64 v[110:111], v[30:31], v[96:97]
	v_fma_f64 v[0:1], v[2:3], s[26:27], -v[0:1]
	v_fma_f64 v[32:33], v[68:69], s[18:19], v[32:33]
	s_delay_alu instid0(VALU_DEP_3)
	v_add_f64 v[30:31], v[35:36], v[110:111]
	v_add_f64 v[35:36], v[110:111], -v[35:36]
	v_add_f64 v[110:111], v[178:179], -v[182:183]
	v_fma_f64 v[0:1], v[100:101], s[18:19], v[0:1]
	v_add_f64 v[28:29], v[108:109], -v[32:33]
	v_add_f64 v[33:34], v[32:33], v[108:109]
	v_add_f64 v[108:109], v[170:171], -v[166:167]
	v_lshl_add_u32 v32, v164, 4, v71
	s_delay_alu instid0(VALU_DEP_2) | instskip(SKIP_1) | instid1(VALU_DEP_2)
	v_mul_f64 v[98:99], v[108:109], s[20:21]
	v_mul_f64 v[108:109], v[110:111], s[20:21]
	v_fma_f64 v[39:40], v[44:45], s[22:23], -v[98:99]
	s_delay_alu instid0(VALU_DEP_2) | instskip(SKIP_2) | instid1(VALU_DEP_4)
	v_fma_f64 v[41:42], v[48:49], s[22:23], -v[108:109]
	v_fma_f64 v[43:44], v[68:69], s[18:19], v[37:38]
	v_fma_f64 v[45:46], v[46:47], s[10:11], v[98:99]
	v_add_f64 v[48:49], v[39:40], v[106:107]
	s_delay_alu instid0(VALU_DEP_4) | instskip(NEXT) | instid1(VALU_DEP_2)
	v_add_f64 v[110:111], v[41:42], v[96:97]
	v_add_f64 v[37:38], v[43:44], v[48:49]
	s_delay_alu instid0(VALU_DEP_2)
	v_add_f64 v[39:40], v[110:111], -v[0:1]
	v_add_f64 v[41:42], v[48:49], -v[43:44]
	v_add_f64 v[43:44], v[0:1], v[110:111]
	v_fma_f64 v[0:1], v[2:3], s[24:25], v[102:103]
	v_fma_f64 v[2:3], v[156:157], s[24:25], v[104:105]
	;; [unrolled: 1-line block ×3, first 2 shown]
	v_add_f64 v[49:50], v[45:46], v[106:107]
	v_add_f64 v[102:103], v[12:13], v[6:7]
	v_add_f64 v[6:7], v[12:13], -v[6:7]
	v_add_f64 v[104:105], v[248:249], v[26:27]
	v_fma_f64 v[0:1], v[100:101], s[18:19], v[0:1]
	v_fma_f64 v[2:3], v[68:69], s[18:19], v[2:3]
	v_add_f64 v[68:69], v[47:48], v[96:97]
	v_add_f64 v[100:101], v[10:11], v[4:5]
	v_add_f64 v[4:5], v[10:11], -v[4:5]
	v_add_f64 v[10:11], v[26:27], -v[248:249]
	v_add_f64 v[96:97], v[24:25], v[250:251]
	v_add_f64 v[45:46], v[2:3], v[49:50]
	v_add_f64 v[47:48], v[68:69], -v[0:1]
	v_add_f64 v[156:157], v[49:50], -v[2:3]
	v_add_f64 v[158:159], v[0:1], v[68:69]
	v_add_f64 v[68:69], v[14:15], v[22:23]
	ds_store_b128 v32, v[252:255] offset:4608
	ds_store_b128 v32, v[60:63] offset:9216
	;; [unrolled: 1-line block ×6, first 2 shown]
	ds_store_b128 v70, v[244:247]
	ds_store_b128 v70, v[240:243] offset:1792
	ds_store_b128 v32, v[45:48] offset:6400
	;; [unrolled: 1-line block ×7, first 2 shown]
	v_add_f64 v[14:15], v[14:15], -v[22:23]
	v_add_f64 v[16:17], v[250:251], -v[24:25]
	v_add_f64 v[49:50], v[8:9], v[20:21]
	v_add_f64 v[8:9], v[8:9], -v[20:21]
	v_add_f64 v[33:34], v[10:11], -v[6:7]
	;; [unrolled: 1-line block ×6, first 2 shown]
	v_add_f64 v[28:29], v[16:17], v[14:15]
	v_add_f64 v[30:31], v[16:17], -v[14:15]
	v_add_f64 v[14:15], v[14:15], -v[8:9]
	;; [unrolled: 1-line block ×3, first 2 shown]
	v_add_f64 v[0:1], v[68:69], v[49:50]
	v_add_f64 v[18:19], v[49:50], -v[96:97]
	v_add_f64 v[12:13], v[68:69], -v[49:50]
	v_add_f64 v[28:29], v[28:29], v[8:9]
	v_add_f64 v[8:9], v[10:11], v[6:7]
	v_add_f64 v[6:7], v[6:7], -v[4:5]
	v_add_f64 v[10:11], v[4:5], -v[10:11]
	v_add_f64 v[98:99], v[96:97], v[0:1]
	v_add_f64 v[0:1], v[102:103], v[100:101]
	;; [unrolled: 1-line block ×3, first 2 shown]
	v_mul_f64 v[4:5], v[30:31], s[16:17]
	v_mul_f64 v[8:9], v[14:15], s[14:15]
	;; [unrolled: 1-line block ×3, first 2 shown]
	v_add_f64 v[106:107], v[104:105], v[0:1]
	v_add_f64 v[0:1], v[236:237], v[98:99]
	v_fma_f64 v[14:15], v[14:15], s[14:15], -v[4:5]
	v_fma_f64 v[4:5], v[16:17], s[24:25], v[4:5]
	v_fma_f64 v[16:17], v[16:17], s[26:27], -v[8:9]
	v_mul_f64 v[8:9], v[33:34], s[16:17]
	v_fma_f64 v[30:31], v[10:11], s[26:27], -v[30:31]
	v_add_f64 v[2:3], v[238:239], v[106:107]
	s_delay_alu instid0(VALU_DEP_3) | instskip(SKIP_3) | instid1(VALU_DEP_4)
	v_fma_f64 v[6:7], v[6:7], s[14:15], -v[8:9]
	v_fma_f64 v[33:34], v[10:11], s[24:25], v[8:9]
	v_mul_f64 v[8:9], v[18:19], s[20:21]
	v_mul_f64 v[10:11], v[20:21], s[10:11]
	v_fma_f64 v[6:7], v[35:36], s[18:19], v[6:7]
	s_delay_alu instid0(VALU_DEP_3) | instskip(NEXT) | instid1(VALU_DEP_3)
	v_fma_f64 v[18:19], v[20:21], s[10:11], v[8:9]
	v_fma_f64 v[20:21], v[12:13], s[12:13], -v[10:11]
	v_fma_f64 v[37:38], v[12:13], s[22:23], -v[8:9]
	v_mul_f64 v[8:9], v[26:27], s[20:21]
	v_mul_f64 v[10:11], v[24:25], s[10:11]
	v_fma_f64 v[26:27], v[28:29], s[18:19], v[16:17]
	v_fma_f64 v[16:17], v[98:99], s[0:1], v[0:1]
	s_delay_alu instid0(VALU_DEP_4) | instskip(NEXT) | instid1(VALU_DEP_4)
	v_fma_f64 v[41:42], v[22:23], s[22:23], -v[8:9]
	v_fma_f64 v[39:40], v[22:23], s[12:13], -v[10:11]
	v_fma_f64 v[43:44], v[24:25], s[10:11], v[8:9]
	s_delay_alu instid0(VALU_DEP_4)
	v_add_f64 v[12:13], v[20:21], v[16:17]
	v_add_f64 v[20:21], v[37:38], v[16:17]
	;; [unrolled: 1-line block ×3, first 2 shown]
	v_fma_f64 v[16:17], v[106:107], s[0:1], v[2:3]
	v_fma_f64 v[8:9], v[28:29], s[18:19], v[4:5]
	;; [unrolled: 1-line block ×5, first 2 shown]
	v_add_f64 v[165:166], v[6:7], v[12:13]
	v_add_f64 v[24:25], v[39:40], v[16:17]
	;; [unrolled: 1-line block ×4, first 2 shown]
	v_add_f64 v[173:174], v[22:23], -v[10:11]
	v_add_f64 v[169:170], v[20:21], -v[14:15]
	v_add_f64 v[167:168], v[24:25], -v[4:5]
	v_add_f64 v[171:172], v[26:27], v[30:31]
	v_add_f64 v[175:176], v[8:9], v[28:29]
	s_and_saveexec_b32 s0, vcc_lo
	s_cbranch_execz .LBB0_5
; %bb.4:
	v_add_f64 v[16:17], v[30:31], -v[26:27]
	v_add_f64 v[28:29], v[28:29], -v[8:9]
	v_add_f64 v[26:27], v[10:11], v[22:23]
	v_add_f64 v[14:15], v[14:15], v[20:21]
	;; [unrolled: 1-line block ×3, first 2 shown]
	v_add_f64 v[6:7], v[12:13], -v[6:7]
	ds_store_b128 v70, v[0:3] offset:3584
	ds_store_b128 v32, v[26:29] offset:8192
	;; [unrolled: 1-line block ×7, first 2 shown]
.LBB0_5:
	s_or_b32 exec_lo, exec_lo, s0
	s_waitcnt lgkmcnt(0)
	s_waitcnt_vscnt null, 0x0
	s_barrier
	buffer_gl0_inv
	scratch_load_b32 v0, off, off offset:412 ; 4-byte Folded Reload
	s_add_u32 s8, s8, 0x7e00
	s_addc_u32 s9, s9, 0
	v_lshlrev_b32_e32 v35, 4, v164
	s_waitcnt vmcnt(0)
	global_load_b128 v[0:3], v0, s[8:9]
	scratch_load_b32 v4, off, off offset:408 ; 4-byte Folded Reload
	v_add_co_u32 v69, s0, s8, v35
	s_delay_alu instid0(VALU_DEP_1) | instskip(NEXT) | instid1(VALU_DEP_2)
	v_add_co_ci_u32_e64 v71, null, s9, 0, s0
	v_add_co_u32 v41, s0, 0x3000, v69
	s_delay_alu instid0(VALU_DEP_1) | instskip(SKIP_1) | instid1(VALU_DEP_1)
	v_add_co_ci_u32_e64 v42, s0, 0, v71, s0
	v_add_co_u32 v49, s0, 0x4000, v69
	v_add_co_ci_u32_e64 v50, s0, 0, v71, s0
	v_add_co_u32 v53, s0, 0x1000, v69
	s_delay_alu instid0(VALU_DEP_1)
	v_add_co_ci_u32_e64 v54, s0, 0, v71, s0
	s_waitcnt vmcnt(0)
	global_load_b128 v[4:7], v4, s[8:9]
	ds_load_b128 v[8:11], v70 offset:28672
	ds_load_b128 v[12:15], v70 offset:30464
	s_waitcnt lgkmcnt(1)
	v_mul_f64 v[16:17], v[10:11], v[2:3]
	v_mul_f64 v[2:3], v[8:9], v[2:3]
	s_delay_alu instid0(VALU_DEP_2) | instskip(NEXT) | instid1(VALU_DEP_2)
	v_fma_f64 v[8:9], v[8:9], v[0:1], -v[16:17]
	v_fma_f64 v[10:11], v[10:11], v[0:1], v[2:3]
	ds_load_b128 v[0:3], v70 offset:14336
	ds_load_b128 v[16:19], v70 offset:16128
	s_waitcnt vmcnt(0) lgkmcnt(1)
	v_mul_f64 v[20:21], v[2:3], v[6:7]
	v_mul_f64 v[6:7], v[0:1], v[6:7]
	s_delay_alu instid0(VALU_DEP_2) | instskip(NEXT) | instid1(VALU_DEP_2)
	v_fma_f64 v[0:1], v[0:1], v[4:5], -v[20:21]
	v_fma_f64 v[2:3], v[2:3], v[4:5], v[6:7]
	s_clause 0x1
	global_load_b128 v[4:7], v35, s[8:9]
	global_load_b128 v[20:23], v35, s[8:9] offset:1792
	ds_load_b128 v[24:27], v70
	ds_load_b128 v[28:31], v70 offset:1792
	s_waitcnt vmcnt(1) lgkmcnt(1)
	v_mul_f64 v[33:34], v[26:27], v[6:7]
	v_mul_f64 v[6:7], v[24:25], v[6:7]
	s_delay_alu instid0(VALU_DEP_2) | instskip(NEXT) | instid1(VALU_DEP_2)
	v_fma_f64 v[24:25], v[24:25], v[4:5], -v[33:34]
	v_fma_f64 v[26:27], v[26:27], v[4:5], v[6:7]
	s_waitcnt vmcnt(0) lgkmcnt(0)
	v_mul_f64 v[4:5], v[30:31], v[22:23]
	v_mul_f64 v[6:7], v[28:29], v[22:23]
	s_delay_alu instid0(VALU_DEP_2) | instskip(NEXT) | instid1(VALU_DEP_2)
	v_fma_f64 v[4:5], v[28:29], v[20:21], -v[4:5]
	v_fma_f64 v[6:7], v[30:31], v[20:21], v[6:7]
	global_load_b128 v[20:23], v35, s[8:9] offset:3584
	ds_load_b128 v[28:31], v70 offset:3584
	ds_load_b128 v[33:36], v70 offset:5376
	global_load_b128 v[37:40], v[41:42], off offset:256
	s_mov_b32 s9, 0x3febb67a
	s_waitcnt vmcnt(1) lgkmcnt(1)
	v_mul_f64 v[43:44], v[30:31], v[22:23]
	v_mul_f64 v[22:23], v[28:29], v[22:23]
	s_delay_alu instid0(VALU_DEP_2) | instskip(NEXT) | instid1(VALU_DEP_2)
	v_fma_f64 v[28:29], v[28:29], v[20:21], -v[43:44]
	v_fma_f64 v[30:31], v[30:31], v[20:21], v[22:23]
	s_clause 0x1
	global_load_b128 v[20:23], v[41:42], off offset:3840
	global_load_b128 v[41:44], v[49:50], off offset:1536
	s_waitcnt vmcnt(1)
	v_mul_f64 v[45:46], v[18:19], v[22:23]
	v_mul_f64 v[22:23], v[16:17], v[22:23]
	s_delay_alu instid0(VALU_DEP_2) | instskip(NEXT) | instid1(VALU_DEP_2)
	v_fma_f64 v[16:17], v[16:17], v[20:21], -v[45:46]
	v_fma_f64 v[18:19], v[18:19], v[20:21], v[22:23]
	ds_load_b128 v[20:23], v70 offset:17920
	ds_load_b128 v[45:48], v70 offset:19712
	s_waitcnt vmcnt(0) lgkmcnt(1)
	v_mul_f64 v[51:52], v[22:23], v[43:44]
	v_mul_f64 v[43:44], v[20:21], v[43:44]
	s_delay_alu instid0(VALU_DEP_2) | instskip(NEXT) | instid1(VALU_DEP_2)
	v_fma_f64 v[20:21], v[20:21], v[41:42], -v[51:52]
	v_fma_f64 v[22:23], v[22:23], v[41:42], v[43:44]
	s_clause 0x1
	global_load_b128 v[41:44], v[49:50], off offset:3328
	global_load_b128 v[49:52], v[53:54], off offset:1280
	s_waitcnt vmcnt(1) lgkmcnt(0)
	v_mul_f64 v[55:56], v[47:48], v[43:44]
	v_mul_f64 v[57:58], v[45:46], v[43:44]
	s_delay_alu instid0(VALU_DEP_2) | instskip(NEXT) | instid1(VALU_DEP_2)
	v_fma_f64 v[43:44], v[45:46], v[41:42], -v[55:56]
	v_fma_f64 v[45:46], v[47:48], v[41:42], v[57:58]
	s_waitcnt vmcnt(0)
	v_mul_f64 v[41:42], v[35:36], v[51:52]
	v_mul_f64 v[47:48], v[33:34], v[51:52]
	s_delay_alu instid0(VALU_DEP_2) | instskip(SKIP_1) | instid1(VALU_DEP_1)
	v_fma_f64 v[33:34], v[33:34], v[49:50], -v[41:42]
	v_add_co_u32 v41, s0, 0x5000, v69
	v_add_co_ci_u32_e64 v42, s0, 0, v71, s0
	s_delay_alu instid0(VALU_DEP_4)
	v_fma_f64 v[35:36], v[35:36], v[49:50], v[47:48]
	s_clause 0x1
	global_load_b128 v[47:50], v[53:54], off offset:3072
	global_load_b128 v[51:54], v[41:42], off offset:1024
	ds_load_b128 v[55:58], v70 offset:21504
	ds_load_b128 v[59:62], v70 offset:23296
	s_waitcnt vmcnt(0) lgkmcnt(1)
	v_mul_f64 v[63:64], v[57:58], v[53:54]
	v_mul_f64 v[65:66], v[55:56], v[53:54]
	s_delay_alu instid0(VALU_DEP_2) | instskip(NEXT) | instid1(VALU_DEP_2)
	v_fma_f64 v[53:54], v[55:56], v[51:52], -v[63:64]
	v_fma_f64 v[55:56], v[57:58], v[51:52], v[65:66]
	ds_load_b128 v[63:66], v70 offset:7168
	ds_load_b128 v[156:159], v70 offset:8960
	s_waitcnt lgkmcnt(1)
	v_mul_f64 v[51:52], v[65:66], v[49:50]
	v_mul_f64 v[57:58], v[63:64], v[49:50]
	s_delay_alu instid0(VALU_DEP_2) | instskip(NEXT) | instid1(VALU_DEP_2)
	v_fma_f64 v[49:50], v[63:64], v[47:48], -v[51:52]
	v_fma_f64 v[51:52], v[65:66], v[47:48], v[57:58]
	v_add_co_u32 v47, s0, 0x2000, v69
	s_delay_alu instid0(VALU_DEP_1)
	v_add_co_ci_u32_e64 v48, s0, 0, v71, s0
	s_clause 0x1
	global_load_b128 v[63:66], v[41:42], off offset:2816
	global_load_b128 v[248:251], v[47:48], off offset:768
	s_waitcnt vmcnt(1)
	v_mul_f64 v[41:42], v[61:62], v[65:66]
	v_mul_f64 v[65:66], v[59:60], v[65:66]
	s_delay_alu instid0(VALU_DEP_2) | instskip(SKIP_2) | instid1(VALU_DEP_3)
	v_fma_f64 v[57:58], v[59:60], v[63:64], -v[41:42]
	s_waitcnt vmcnt(0) lgkmcnt(0)
	v_mul_f64 v[41:42], v[158:159], v[250:251]
	v_fma_f64 v[59:60], v[61:62], v[63:64], v[65:66]
	v_mul_f64 v[63:64], v[156:157], v[250:251]
	s_delay_alu instid0(VALU_DEP_3) | instskip(SKIP_1) | instid1(VALU_DEP_1)
	v_fma_f64 v[61:62], v[156:157], v[248:249], -v[41:42]
	v_add_co_u32 v41, s0, 0x6000, v69
	v_add_co_ci_u32_e64 v42, s0, 0, v71, s0
	s_delay_alu instid0(VALU_DEP_4)
	v_fma_f64 v[63:64], v[158:159], v[248:249], v[63:64]
	s_clause 0x1
	global_load_b128 v[156:159], v[47:48], off offset:2560
	global_load_b128 v[248:251], v[41:42], off offset:512
	ds_load_b128 v[252:255], v70 offset:25088
	ds_load_b128 v[65:68], v70 offset:26880
	;; [unrolled: 1-line block ×4, first 2 shown]
	s_waitcnt vmcnt(0) lgkmcnt(3)
	v_mul_f64 v[47:48], v[254:255], v[250:251]
	v_mul_f64 v[96:97], v[252:253], v[250:251]
	s_delay_alu instid0(VALU_DEP_2) | instskip(SKIP_2) | instid1(VALU_DEP_3)
	v_fma_f64 v[250:251], v[252:253], v[248:249], -v[47:48]
	s_waitcnt lgkmcnt(1)
	v_mul_f64 v[47:48], v[238:239], v[158:159]
	v_fma_f64 v[252:253], v[254:255], v[248:249], v[96:97]
	v_mul_f64 v[96:97], v[236:237], v[158:159]
	s_delay_alu instid0(VALU_DEP_3) | instskip(SKIP_1) | instid1(VALU_DEP_1)
	v_fma_f64 v[236:237], v[236:237], v[156:157], -v[47:48]
	v_add_co_u32 v47, s0, 0x7000, v69
	v_add_co_ci_u32_e64 v48, s0, 0, v71, s0
	s_delay_alu instid0(VALU_DEP_4)
	v_fma_f64 v[238:239], v[238:239], v[156:157], v[96:97]
	s_clause 0x1
	global_load_b128 v[156:159], v[41:42], off offset:2304
	global_load_b128 v[244:247], v[47:48], off offset:1792
	s_mov_b32 s0, 0xe8584caa
	s_mov_b32 s1, 0xbfebb67a
	;; [unrolled: 1-line block ×3, first 2 shown]
	s_waitcnt vmcnt(1)
	v_mul_f64 v[41:42], v[67:68], v[158:159]
	v_mul_f64 v[47:48], v[65:66], v[158:159]
	s_delay_alu instid0(VALU_DEP_2) | instskip(NEXT) | instid1(VALU_DEP_2)
	v_fma_f64 v[65:66], v[65:66], v[156:157], -v[41:42]
	v_fma_f64 v[67:68], v[67:68], v[156:157], v[47:48]
	s_waitcnt lgkmcnt(0)
	v_mul_f64 v[41:42], v[242:243], v[39:40]
	v_mul_f64 v[47:48], v[240:241], v[39:40]
	s_delay_alu instid0(VALU_DEP_2) | instskip(NEXT) | instid1(VALU_DEP_2)
	v_fma_f64 v[39:40], v[240:241], v[37:38], -v[41:42]
	v_fma_f64 v[41:42], v[242:243], v[37:38], v[47:48]
	s_waitcnt vmcnt(0)
	v_mul_f64 v[37:38], v[14:15], v[246:247]
	v_mul_f64 v[47:48], v[12:13], v[246:247]
	s_delay_alu instid0(VALU_DEP_2) | instskip(NEXT) | instid1(VALU_DEP_2)
	v_fma_f64 v[12:13], v[12:13], v[244:245], -v[37:38]
	v_fma_f64 v[14:15], v[14:15], v[244:245], v[47:48]
	ds_store_b128 v70, v[24:27]
	ds_store_b128 v70, v[4:7] offset:1792
	ds_store_b128 v70, v[20:23] offset:17920
	;; [unrolled: 1-line block ×17, first 2 shown]
	s_waitcnt lgkmcnt(0)
	s_barrier
	buffer_gl0_inv
	ds_load_b128 v[0:3], v70 offset:16128
	ds_load_b128 v[4:7], v70
	ds_load_b128 v[8:11], v70 offset:1792
	ds_load_b128 v[12:15], v70 offset:14336
	;; [unrolled: 1-line block ×16, first 2 shown]
	s_waitcnt lgkmcnt(0)
	s_barrier
	buffer_gl0_inv
	scratch_load_b32 v69, off, off offset:332 ; 4-byte Folded Reload
	v_add_f64 v[0:1], v[4:5], -v[0:1]
	v_add_f64 v[2:3], v[6:7], -v[2:3]
	s_delay_alu instid0(VALU_DEP_2) | instskip(NEXT) | instid1(VALU_DEP_2)
	v_fma_f64 v[4:5], v[4:5], 2.0, -v[0:1]
	v_fma_f64 v[6:7], v[6:7], 2.0, -v[2:3]
	s_waitcnt vmcnt(0)
	ds_store_b128 v69, v[0:3] offset:16
	ds_store_b128 v69, v[4:7]
	v_add_f64 v[0:1], v[8:9], -v[16:17]
	v_add_f64 v[2:3], v[10:11], -v[18:19]
	s_delay_alu instid0(VALU_DEP_2)
	v_fma_f64 v[4:5], v[8:9], 2.0, -v[0:1]
	scratch_load_b32 v8, off, off offset:328 ; 4-byte Folded Reload
	v_fma_f64 v[6:7], v[10:11], 2.0, -v[2:3]
	s_waitcnt vmcnt(0)
	ds_store_b128 v8, v[4:7]
	ds_store_b128 v8, v[0:3] offset:16
	scratch_load_b32 v8, off, off offset:324 ; 4-byte Folded Reload
	v_add_f64 v[0:1], v[24:25], -v[20:21]
	v_add_f64 v[2:3], v[26:27], -v[22:23]
	s_delay_alu instid0(VALU_DEP_2) | instskip(NEXT) | instid1(VALU_DEP_2)
	v_fma_f64 v[4:5], v[24:25], 2.0, -v[0:1]
	v_fma_f64 v[6:7], v[26:27], 2.0, -v[2:3]
	s_waitcnt vmcnt(0)
	ds_store_b128 v8, v[4:7]
	ds_store_b128 v8, v[0:3] offset:16
	scratch_load_b32 v8, off, off offset:320 ; 4-byte Folded Reload
	v_add_f64 v[0:1], v[28:29], -v[33:34]
	v_add_f64 v[2:3], v[30:31], -v[35:36]
	s_delay_alu instid0(VALU_DEP_2) | instskip(NEXT) | instid1(VALU_DEP_2)
	v_fma_f64 v[4:5], v[28:29], 2.0, -v[0:1]
	;; [unrolled: 9-line block ×6, first 2 shown]
	v_fma_f64 v[6:7], v[63:64], 2.0, -v[2:3]
	s_waitcnt vmcnt(0)
	ds_store_b128 v8, v[4:7]
	ds_store_b128 v8, v[0:3] offset:16
	v_add_f64 v[0:1], v[12:13], -v[156:157]
	v_add_f64 v[2:3], v[14:15], -v[158:159]
	s_delay_alu instid0(VALU_DEP_2) | instskip(NEXT) | instid1(VALU_DEP_2)
	v_fma_f64 v[4:5], v[12:13], 2.0, -v[0:1]
	v_fma_f64 v[6:7], v[14:15], 2.0, -v[2:3]
	ds_store_b128 v115, v[4:7]
	ds_store_b128 v115, v[0:3] offset:16
	s_waitcnt lgkmcnt(0)
	s_barrier
	buffer_gl0_inv
	ds_load_b128 v[0:3], v70 offset:16128
	ds_load_b128 v[4:7], v70 offset:14336
	s_waitcnt lgkmcnt(1)
	v_mul_f64 v[8:9], v[74:75], v[2:3]
	s_delay_alu instid0(VALU_DEP_1) | instskip(SKIP_1) | instid1(VALU_DEP_1)
	v_fma_f64 v[12:13], v[72:73], v[0:1], v[8:9]
	v_mul_f64 v[0:1], v[74:75], v[0:1]
	v_fma_f64 v[14:15], v[72:73], v[2:3], -v[0:1]
	ds_load_b128 v[0:3], v70 offset:17920
	ds_load_b128 v[8:11], v70 offset:19712
	s_waitcnt lgkmcnt(1)
	v_mul_f64 v[16:17], v[74:75], v[2:3]
	s_delay_alu instid0(VALU_DEP_1) | instskip(SKIP_1) | instid1(VALU_DEP_1)
	v_fma_f64 v[41:42], v[72:73], v[0:1], v[16:17]
	v_mul_f64 v[0:1], v[74:75], v[0:1]
	v_fma_f64 v[43:44], v[72:73], v[2:3], -v[0:1]
	s_waitcnt lgkmcnt(0)
	v_mul_f64 v[0:1], v[74:75], v[10:11]
	s_delay_alu instid0(VALU_DEP_1) | instskip(SKIP_1) | instid1(VALU_DEP_1)
	v_fma_f64 v[45:46], v[72:73], v[8:9], v[0:1]
	v_mul_f64 v[0:1], v[74:75], v[8:9]
	v_fma_f64 v[47:48], v[72:73], v[10:11], -v[0:1]
	ds_load_b128 v[0:3], v70 offset:21504
	ds_load_b128 v[8:11], v70 offset:23296
	s_waitcnt lgkmcnt(1)
	v_mul_f64 v[16:17], v[74:75], v[2:3]
	s_delay_alu instid0(VALU_DEP_1) | instskip(SKIP_1) | instid1(VALU_DEP_1)
	v_fma_f64 v[49:50], v[72:73], v[0:1], v[16:17]
	v_mul_f64 v[0:1], v[74:75], v[0:1]
	v_fma_f64 v[51:52], v[72:73], v[2:3], -v[0:1]
	;; [unrolled: 14-line block ×4, first 2 shown]
	s_waitcnt lgkmcnt(0)
	v_mul_f64 v[0:1], v[74:75], v[10:11]
	s_delay_alu instid0(VALU_DEP_1) | instskip(SKIP_1) | instid1(VALU_DEP_1)
	v_fma_f64 v[96:97], v[72:73], v[8:9], v[0:1]
	v_mul_f64 v[0:1], v[74:75], v[8:9]
	v_fma_f64 v[71:72], v[72:73], v[10:11], -v[0:1]
	ds_load_b128 v[0:3], v70
	ds_load_b128 v[8:11], v70 offset:1792
	ds_load_b128 v[16:19], v70 offset:3584
	;; [unrolled: 1-line block ×7, first 2 shown]
	s_waitcnt lgkmcnt(0)
	s_barrier
	buffer_gl0_inv
	scratch_load_b32 v69, off, off offset:360 ; 4-byte Folded Reload
	v_add_f64 v[12:13], v[0:1], -v[12:13]
	v_add_f64 v[14:15], v[2:3], -v[14:15]
	s_delay_alu instid0(VALU_DEP_2) | instskip(NEXT) | instid1(VALU_DEP_2)
	v_fma_f64 v[0:1], v[0:1], 2.0, -v[12:13]
	v_fma_f64 v[2:3], v[2:3], 2.0, -v[14:15]
	s_waitcnt vmcnt(0)
	ds_store_b128 v69, v[12:15] offset:32
	ds_store_b128 v69, v[0:3]
	scratch_load_b32 v12, off, off offset:368 ; 4-byte Folded Reload
	v_add_f64 v[0:1], v[8:9], -v[41:42]
	v_add_f64 v[2:3], v[10:11], -v[43:44]
	s_delay_alu instid0(VALU_DEP_2) | instskip(NEXT) | instid1(VALU_DEP_2)
	v_fma_f64 v[8:9], v[8:9], 2.0, -v[0:1]
	v_fma_f64 v[10:11], v[10:11], 2.0, -v[2:3]
	s_waitcnt vmcnt(0)
	ds_store_b128 v12, v[8:11]
	ds_store_b128 v12, v[0:3] offset:32
	scratch_load_b32 v12, off, off offset:364 ; 4-byte Folded Reload
	v_add_f64 v[0:1], v[16:17], -v[45:46]
	v_add_f64 v[2:3], v[18:19], -v[47:48]
	s_delay_alu instid0(VALU_DEP_2) | instskip(NEXT) | instid1(VALU_DEP_2)
	v_fma_f64 v[8:9], v[16:17], 2.0, -v[0:1]
	v_fma_f64 v[10:11], v[18:19], 2.0, -v[2:3]
	s_waitcnt vmcnt(0)
	ds_store_b128 v12, v[8:11]
	ds_store_b128 v12, v[0:3] offset:32
	;; [unrolled: 9-line block ×8, first 2 shown]
	s_waitcnt lgkmcnt(0)
	s_barrier
	buffer_gl0_inv
	ds_load_b128 v[0:3], v70 offset:16128
	ds_load_b128 v[4:7], v70 offset:14336
	s_waitcnt lgkmcnt(1)
	v_mul_f64 v[8:9], v[78:79], v[2:3]
	s_delay_alu instid0(VALU_DEP_1) | instskip(SKIP_1) | instid1(VALU_DEP_1)
	v_fma_f64 v[12:13], v[76:77], v[0:1], v[8:9]
	v_mul_f64 v[0:1], v[78:79], v[0:1]
	v_fma_f64 v[14:15], v[76:77], v[2:3], -v[0:1]
	ds_load_b128 v[0:3], v70 offset:17920
	ds_load_b128 v[8:11], v70 offset:19712
	s_waitcnt lgkmcnt(1)
	v_mul_f64 v[16:17], v[78:79], v[2:3]
	s_delay_alu instid0(VALU_DEP_1) | instskip(SKIP_1) | instid1(VALU_DEP_1)
	v_fma_f64 v[41:42], v[76:77], v[0:1], v[16:17]
	v_mul_f64 v[0:1], v[78:79], v[0:1]
	v_fma_f64 v[43:44], v[76:77], v[2:3], -v[0:1]
	s_waitcnt lgkmcnt(0)
	v_mul_f64 v[0:1], v[78:79], v[10:11]
	s_delay_alu instid0(VALU_DEP_1) | instskip(SKIP_1) | instid1(VALU_DEP_1)
	v_fma_f64 v[45:46], v[76:77], v[8:9], v[0:1]
	v_mul_f64 v[0:1], v[78:79], v[8:9]
	v_fma_f64 v[47:48], v[76:77], v[10:11], -v[0:1]
	ds_load_b128 v[0:3], v70 offset:21504
	ds_load_b128 v[8:11], v70 offset:23296
	s_waitcnt lgkmcnt(1)
	v_mul_f64 v[16:17], v[78:79], v[2:3]
	s_delay_alu instid0(VALU_DEP_1) | instskip(SKIP_1) | instid1(VALU_DEP_1)
	v_fma_f64 v[49:50], v[76:77], v[0:1], v[16:17]
	v_mul_f64 v[0:1], v[78:79], v[0:1]
	v_fma_f64 v[51:52], v[76:77], v[2:3], -v[0:1]
	;; [unrolled: 14-line block ×4, first 2 shown]
	s_waitcnt lgkmcnt(0)
	v_mul_f64 v[0:1], v[78:79], v[10:11]
	s_delay_alu instid0(VALU_DEP_1) | instskip(SKIP_1) | instid1(VALU_DEP_1)
	v_fma_f64 v[71:72], v[76:77], v[8:9], v[0:1]
	v_mul_f64 v[0:1], v[78:79], v[8:9]
	v_fma_f64 v[73:74], v[76:77], v[10:11], -v[0:1]
	ds_load_b128 v[0:3], v70
	ds_load_b128 v[8:11], v70 offset:1792
	ds_load_b128 v[16:19], v70 offset:3584
	;; [unrolled: 1-line block ×7, first 2 shown]
	s_waitcnt lgkmcnt(0)
	s_barrier
	buffer_gl0_inv
	scratch_load_b32 v69, off, off offset:396 ; 4-byte Folded Reload
	v_add_f64 v[12:13], v[0:1], -v[12:13]
	v_add_f64 v[14:15], v[2:3], -v[14:15]
	s_delay_alu instid0(VALU_DEP_2) | instskip(NEXT) | instid1(VALU_DEP_2)
	v_fma_f64 v[0:1], v[0:1], 2.0, -v[12:13]
	v_fma_f64 v[2:3], v[2:3], 2.0, -v[14:15]
	s_waitcnt vmcnt(0)
	ds_store_b128 v69, v[12:15] offset:64
	ds_store_b128 v69, v[0:3]
	scratch_load_b32 v12, off, off offset:404 ; 4-byte Folded Reload
	v_add_f64 v[0:1], v[8:9], -v[41:42]
	v_add_f64 v[2:3], v[10:11], -v[43:44]
	s_delay_alu instid0(VALU_DEP_2) | instskip(NEXT) | instid1(VALU_DEP_2)
	v_fma_f64 v[8:9], v[8:9], 2.0, -v[0:1]
	v_fma_f64 v[10:11], v[10:11], 2.0, -v[2:3]
	s_waitcnt vmcnt(0)
	ds_store_b128 v12, v[8:11]
	ds_store_b128 v12, v[0:3] offset:64
	scratch_load_b32 v12, off, off offset:400 ; 4-byte Folded Reload
	v_add_f64 v[0:1], v[16:17], -v[45:46]
	v_add_f64 v[2:3], v[18:19], -v[47:48]
	s_delay_alu instid0(VALU_DEP_2) | instskip(NEXT) | instid1(VALU_DEP_2)
	v_fma_f64 v[8:9], v[16:17], 2.0, -v[0:1]
	v_fma_f64 v[10:11], v[18:19], 2.0, -v[2:3]
	s_waitcnt vmcnt(0)
	ds_store_b128 v12, v[8:11]
	ds_store_b128 v12, v[0:3] offset:64
	;; [unrolled: 9-line block ×8, first 2 shown]
	s_waitcnt lgkmcnt(0)
	s_barrier
	buffer_gl0_inv
	ds_load_b128 v[0:3], v70 offset:16128
	ds_load_b128 v[4:7], v70 offset:14336
	s_waitcnt lgkmcnt(1)
	v_mul_f64 v[8:9], v[82:83], v[2:3]
	s_delay_alu instid0(VALU_DEP_1) | instskip(SKIP_1) | instid1(VALU_DEP_1)
	v_fma_f64 v[12:13], v[80:81], v[0:1], v[8:9]
	v_mul_f64 v[0:1], v[82:83], v[0:1]
	v_fma_f64 v[14:15], v[80:81], v[2:3], -v[0:1]
	ds_load_b128 v[0:3], v70 offset:17920
	ds_load_b128 v[8:11], v70 offset:19712
	s_waitcnt lgkmcnt(1)
	v_mul_f64 v[16:17], v[82:83], v[2:3]
	s_delay_alu instid0(VALU_DEP_1) | instskip(SKIP_1) | instid1(VALU_DEP_1)
	v_fma_f64 v[41:42], v[80:81], v[0:1], v[16:17]
	v_mul_f64 v[0:1], v[82:83], v[0:1]
	v_fma_f64 v[43:44], v[80:81], v[2:3], -v[0:1]
	s_waitcnt lgkmcnt(0)
	v_mul_f64 v[0:1], v[82:83], v[10:11]
	s_delay_alu instid0(VALU_DEP_1) | instskip(SKIP_1) | instid1(VALU_DEP_1)
	v_fma_f64 v[45:46], v[80:81], v[8:9], v[0:1]
	v_mul_f64 v[0:1], v[82:83], v[8:9]
	v_fma_f64 v[47:48], v[80:81], v[10:11], -v[0:1]
	ds_load_b128 v[0:3], v70 offset:21504
	ds_load_b128 v[8:11], v70 offset:23296
	s_waitcnt lgkmcnt(1)
	v_mul_f64 v[16:17], v[82:83], v[2:3]
	s_delay_alu instid0(VALU_DEP_1) | instskip(SKIP_1) | instid1(VALU_DEP_1)
	v_fma_f64 v[49:50], v[80:81], v[0:1], v[16:17]
	v_mul_f64 v[0:1], v[82:83], v[0:1]
	v_fma_f64 v[51:52], v[80:81], v[2:3], -v[0:1]
	;; [unrolled: 14-line block ×4, first 2 shown]
	s_waitcnt lgkmcnt(0)
	v_mul_f64 v[0:1], v[82:83], v[10:11]
	s_delay_alu instid0(VALU_DEP_1) | instskip(SKIP_1) | instid1(VALU_DEP_1)
	v_fma_f64 v[71:72], v[80:81], v[8:9], v[0:1]
	v_mul_f64 v[0:1], v[82:83], v[8:9]
	v_fma_f64 v[73:74], v[80:81], v[10:11], -v[0:1]
	ds_load_b128 v[0:3], v70
	ds_load_b128 v[8:11], v70 offset:1792
	ds_load_b128 v[16:19], v70 offset:3584
	;; [unrolled: 1-line block ×7, first 2 shown]
	s_waitcnt lgkmcnt(0)
	s_barrier
	buffer_gl0_inv
	scratch_load_b32 v69, off, off offset:488 ; 4-byte Folded Reload
	v_add_f64 v[12:13], v[0:1], -v[12:13]
	v_add_f64 v[14:15], v[2:3], -v[14:15]
	s_delay_alu instid0(VALU_DEP_2) | instskip(NEXT) | instid1(VALU_DEP_2)
	v_fma_f64 v[0:1], v[0:1], 2.0, -v[12:13]
	v_fma_f64 v[2:3], v[2:3], 2.0, -v[14:15]
	s_waitcnt vmcnt(0)
	ds_store_b128 v69, v[12:15] offset:128
	ds_store_b128 v69, v[0:3]
	scratch_load_b32 v12, off, off offset:496 ; 4-byte Folded Reload
	v_add_f64 v[0:1], v[8:9], -v[41:42]
	v_add_f64 v[2:3], v[10:11], -v[43:44]
	s_delay_alu instid0(VALU_DEP_2) | instskip(NEXT) | instid1(VALU_DEP_2)
	v_fma_f64 v[8:9], v[8:9], 2.0, -v[0:1]
	v_fma_f64 v[10:11], v[10:11], 2.0, -v[2:3]
	s_waitcnt vmcnt(0)
	ds_store_b128 v12, v[8:11]
	ds_store_b128 v12, v[0:3] offset:128
	scratch_load_b32 v12, off, off offset:492 ; 4-byte Folded Reload
	v_add_f64 v[0:1], v[16:17], -v[45:46]
	v_add_f64 v[2:3], v[18:19], -v[47:48]
	s_delay_alu instid0(VALU_DEP_2) | instskip(NEXT) | instid1(VALU_DEP_2)
	v_fma_f64 v[8:9], v[16:17], 2.0, -v[0:1]
	v_fma_f64 v[10:11], v[18:19], 2.0, -v[2:3]
	s_waitcnt vmcnt(0)
	ds_store_b128 v12, v[8:11]
	ds_store_b128 v12, v[0:3] offset:128
	;; [unrolled: 9-line block ×8, first 2 shown]
	s_waitcnt lgkmcnt(0)
	s_barrier
	buffer_gl0_inv
	ds_load_b128 v[0:3], v70 offset:16128
	ds_load_b128 v[4:7], v70 offset:14336
	s_waitcnt lgkmcnt(1)
	v_mul_f64 v[8:9], v[86:87], v[2:3]
	s_delay_alu instid0(VALU_DEP_1) | instskip(SKIP_1) | instid1(VALU_DEP_1)
	v_fma_f64 v[12:13], v[84:85], v[0:1], v[8:9]
	v_mul_f64 v[0:1], v[86:87], v[0:1]
	v_fma_f64 v[14:15], v[84:85], v[2:3], -v[0:1]
	ds_load_b128 v[0:3], v70 offset:17920
	ds_load_b128 v[8:11], v70 offset:19712
	s_waitcnt lgkmcnt(1)
	v_mul_f64 v[16:17], v[86:87], v[2:3]
	s_delay_alu instid0(VALU_DEP_1) | instskip(SKIP_1) | instid1(VALU_DEP_1)
	v_fma_f64 v[41:42], v[84:85], v[0:1], v[16:17]
	v_mul_f64 v[0:1], v[86:87], v[0:1]
	v_fma_f64 v[43:44], v[84:85], v[2:3], -v[0:1]
	s_waitcnt lgkmcnt(0)
	v_mul_f64 v[0:1], v[86:87], v[10:11]
	s_delay_alu instid0(VALU_DEP_1) | instskip(SKIP_1) | instid1(VALU_DEP_1)
	v_fma_f64 v[45:46], v[84:85], v[8:9], v[0:1]
	v_mul_f64 v[0:1], v[86:87], v[8:9]
	v_fma_f64 v[47:48], v[84:85], v[10:11], -v[0:1]
	ds_load_b128 v[0:3], v70 offset:21504
	ds_load_b128 v[8:11], v70 offset:23296
	s_waitcnt lgkmcnt(1)
	v_mul_f64 v[16:17], v[86:87], v[2:3]
	s_delay_alu instid0(VALU_DEP_1) | instskip(SKIP_1) | instid1(VALU_DEP_1)
	v_fma_f64 v[49:50], v[84:85], v[0:1], v[16:17]
	v_mul_f64 v[0:1], v[86:87], v[0:1]
	v_fma_f64 v[51:52], v[84:85], v[2:3], -v[0:1]
	;; [unrolled: 14-line block ×4, first 2 shown]
	s_waitcnt lgkmcnt(0)
	v_mul_f64 v[0:1], v[86:87], v[10:11]
	s_delay_alu instid0(VALU_DEP_1) | instskip(SKIP_1) | instid1(VALU_DEP_1)
	v_fma_f64 v[71:72], v[84:85], v[8:9], v[0:1]
	v_mul_f64 v[0:1], v[86:87], v[8:9]
	v_fma_f64 v[73:74], v[84:85], v[10:11], -v[0:1]
	ds_load_b128 v[0:3], v70
	ds_load_b128 v[8:11], v70 offset:1792
	ds_load_b128 v[16:19], v70 offset:3584
	;; [unrolled: 1-line block ×7, first 2 shown]
	s_waitcnt lgkmcnt(0)
	s_barrier
	buffer_gl0_inv
	scratch_load_b32 v69, off, off offset:568 ; 4-byte Folded Reload
	v_add_f64 v[12:13], v[0:1], -v[12:13]
	v_add_f64 v[14:15], v[2:3], -v[14:15]
	s_delay_alu instid0(VALU_DEP_2) | instskip(NEXT) | instid1(VALU_DEP_2)
	v_fma_f64 v[0:1], v[0:1], 2.0, -v[12:13]
	v_fma_f64 v[2:3], v[2:3], 2.0, -v[14:15]
	s_waitcnt vmcnt(0)
	ds_store_b128 v69, v[12:15] offset:256
	ds_store_b128 v69, v[0:3]
	scratch_load_b32 v12, off, off offset:576 ; 4-byte Folded Reload
	v_add_f64 v[0:1], v[8:9], -v[41:42]
	v_add_f64 v[2:3], v[10:11], -v[43:44]
	s_delay_alu instid0(VALU_DEP_2) | instskip(NEXT) | instid1(VALU_DEP_2)
	v_fma_f64 v[8:9], v[8:9], 2.0, -v[0:1]
	v_fma_f64 v[10:11], v[10:11], 2.0, -v[2:3]
	s_waitcnt vmcnt(0)
	ds_store_b128 v12, v[8:11]
	ds_store_b128 v12, v[0:3] offset:256
	scratch_load_b32 v12, off, off offset:572 ; 4-byte Folded Reload
	v_add_f64 v[0:1], v[16:17], -v[45:46]
	v_add_f64 v[2:3], v[18:19], -v[47:48]
	s_delay_alu instid0(VALU_DEP_2) | instskip(NEXT) | instid1(VALU_DEP_2)
	v_fma_f64 v[8:9], v[16:17], 2.0, -v[0:1]
	v_fma_f64 v[10:11], v[18:19], 2.0, -v[2:3]
	s_waitcnt vmcnt(0)
	ds_store_b128 v12, v[8:11]
	ds_store_b128 v12, v[0:3] offset:256
	scratch_load_b32 v12, off, off offset:564 ; 4-byte Folded Reload
	v_add_f64 v[0:1], v[20:21], -v[49:50]
	v_add_f64 v[2:3], v[22:23], -v[51:52]
	s_delay_alu instid0(VALU_DEP_2) | instskip(NEXT) | instid1(VALU_DEP_2)
	v_fma_f64 v[8:9], v[20:21], 2.0, -v[0:1]
	v_fma_f64 v[10:11], v[22:23], 2.0, -v[2:3]
	s_waitcnt vmcnt(0)
	ds_store_b128 v12, v[8:11]
	ds_store_b128 v12, v[0:3] offset:256
	scratch_load_b32 v12, off, off offset:560 ; 4-byte Folded Reload
	v_add_f64 v[0:1], v[24:25], -v[53:54]
	v_add_f64 v[2:3], v[26:27], -v[55:56]
	s_delay_alu instid0(VALU_DEP_2) | instskip(NEXT) | instid1(VALU_DEP_2)
	v_fma_f64 v[8:9], v[24:25], 2.0, -v[0:1]
	v_fma_f64 v[10:11], v[26:27], 2.0, -v[2:3]
	s_waitcnt vmcnt(0)
	ds_store_b128 v12, v[8:11]
	ds_store_b128 v12, v[0:3] offset:256
	scratch_load_b32 v12, off, off offset:556 ; 4-byte Folded Reload
	v_add_f64 v[0:1], v[28:29], -v[57:58]
	v_add_f64 v[2:3], v[30:31], -v[59:60]
	s_delay_alu instid0(VALU_DEP_2) | instskip(NEXT) | instid1(VALU_DEP_2)
	v_fma_f64 v[8:9], v[28:29], 2.0, -v[0:1]
	v_fma_f64 v[10:11], v[30:31], 2.0, -v[2:3]
	s_waitcnt vmcnt(0)
	ds_store_b128 v12, v[8:11]
	ds_store_b128 v12, v[0:3] offset:256
	scratch_load_b32 v12, off, off offset:552 ; 4-byte Folded Reload
	v_add_f64 v[0:1], v[33:34], -v[61:62]
	v_add_f64 v[2:3], v[35:36], -v[63:64]
	s_delay_alu instid0(VALU_DEP_2) | instskip(NEXT) | instid1(VALU_DEP_2)
	v_fma_f64 v[8:9], v[33:34], 2.0, -v[0:1]
	v_fma_f64 v[10:11], v[35:36], 2.0, -v[2:3]
	s_waitcnt vmcnt(0)
	ds_store_b128 v12, v[8:11]
	ds_store_b128 v12, v[0:3] offset:256
	scratch_load_b32 v12, off, off offset:532 ; 4-byte Folded Reload
	v_add_f64 v[0:1], v[37:38], -v[65:66]
	v_add_f64 v[2:3], v[39:40], -v[67:68]
	s_delay_alu instid0(VALU_DEP_2) | instskip(NEXT) | instid1(VALU_DEP_2)
	v_fma_f64 v[8:9], v[37:38], 2.0, -v[0:1]
	v_fma_f64 v[10:11], v[39:40], 2.0, -v[2:3]
	s_waitcnt vmcnt(0)
	ds_store_b128 v12, v[8:11]
	ds_store_b128 v12, v[0:3] offset:256
	scratch_load_b32 v8, off, off offset:528 ; 4-byte Folded Reload
	v_add_f64 v[0:1], v[4:5], -v[71:72]
	v_add_f64 v[2:3], v[6:7], -v[73:74]
	s_delay_alu instid0(VALU_DEP_2) | instskip(NEXT) | instid1(VALU_DEP_2)
	v_fma_f64 v[4:5], v[4:5], 2.0, -v[0:1]
	v_fma_f64 v[6:7], v[6:7], 2.0, -v[2:3]
	s_waitcnt vmcnt(0)
	ds_store_b128 v8, v[4:7]
	ds_store_b128 v8, v[0:3] offset:256
	s_waitcnt lgkmcnt(0)
	s_barrier
	buffer_gl0_inv
	ds_load_b128 v[0:3], v70 offset:16128
	ds_load_b128 v[4:7], v70 offset:14336
	s_waitcnt lgkmcnt(1)
	v_mul_f64 v[8:9], v[122:123], v[2:3]
	s_delay_alu instid0(VALU_DEP_1) | instskip(SKIP_1) | instid1(VALU_DEP_1)
	v_fma_f64 v[33:34], v[120:121], v[0:1], v[8:9]
	v_mul_f64 v[0:1], v[122:123], v[0:1]
	v_fma_f64 v[35:36], v[120:121], v[2:3], -v[0:1]
	ds_load_b128 v[0:3], v70 offset:26880
	ds_load_b128 v[8:11], v70 offset:25088
	scratch_load_b128 v[14:17], off, off offset:536 ; 16-byte Folded Reload
	s_waitcnt vmcnt(0) lgkmcnt(1)
	v_mul_f64 v[12:13], v[16:17], v[2:3]
	s_delay_alu instid0(VALU_DEP_1) | instskip(SKIP_1) | instid1(VALU_DEP_1)
	v_fma_f64 v[37:38], v[14:15], v[0:1], v[12:13]
	v_mul_f64 v[0:1], v[16:17], v[0:1]
	v_fma_f64 v[39:40], v[14:15], v[2:3], -v[0:1]
	ds_load_b128 v[0:3], v70 offset:10752
	ds_load_b128 v[12:15], v70 offset:12544
	s_waitcnt lgkmcnt(1)
	v_mul_f64 v[16:17], v[90:91], v[2:3]
	s_delay_alu instid0(VALU_DEP_1) | instskip(SKIP_1) | instid1(VALU_DEP_1)
	v_fma_f64 v[20:21], v[88:89], v[0:1], v[16:17]
	v_mul_f64 v[0:1], v[90:91], v[0:1]
	v_fma_f64 v[22:23], v[88:89], v[2:3], -v[0:1]
	v_mul_f64 v[0:1], v[90:91], v[6:7]
	s_delay_alu instid0(VALU_DEP_1) | instskip(SKIP_1) | instid1(VALU_DEP_1)
	v_fma_f64 v[41:42], v[88:89], v[4:5], v[0:1]
	v_mul_f64 v[0:1], v[90:91], v[4:5]
	v_fma_f64 v[43:44], v[88:89], v[6:7], -v[0:1]
	ds_load_b128 v[0:3], v70 offset:17920
	ds_load_b128 v[4:7], v70 offset:19712
	s_waitcnt lgkmcnt(1)
	v_mul_f64 v[16:17], v[90:91], v[2:3]
	s_delay_alu instid0(VALU_DEP_1) | instskip(SKIP_1) | instid1(VALU_DEP_1)
	v_fma_f64 v[45:46], v[88:89], v[0:1], v[16:17]
	v_mul_f64 v[0:1], v[90:91], v[0:1]
	v_fma_f64 v[47:48], v[88:89], v[2:3], -v[0:1]
	ds_load_b128 v[0:3], v70 offset:21504
	ds_load_b128 v[16:19], v70 offset:23296
	s_waitcnt lgkmcnt(1)
	v_mul_f64 v[24:25], v[94:95], v[2:3]
	s_delay_alu instid0(VALU_DEP_1) | instskip(SKIP_1) | instid1(VALU_DEP_1)
	v_fma_f64 v[24:25], v[92:93], v[0:1], v[24:25]
	v_mul_f64 v[0:1], v[94:95], v[0:1]
	v_fma_f64 v[26:27], v[92:93], v[2:3], -v[0:1]
	v_mul_f64 v[0:1], v[94:95], v[10:11]
	s_delay_alu instid0(VALU_DEP_1) | instskip(SKIP_1) | instid1(VALU_DEP_1)
	v_fma_f64 v[49:50], v[92:93], v[8:9], v[0:1]
	v_mul_f64 v[0:1], v[94:95], v[8:9]
	v_fma_f64 v[51:52], v[92:93], v[10:11], -v[0:1]
	ds_load_b128 v[0:3], v70 offset:28672
	ds_load_b128 v[8:11], v70 offset:30464
	s_waitcnt lgkmcnt(1)
	v_mul_f64 v[28:29], v[94:95], v[2:3]
	s_delay_alu instid0(VALU_DEP_1) | instskip(SKIP_2) | instid1(VALU_DEP_1)
	v_fma_f64 v[53:54], v[92:93], v[0:1], v[28:29]
	scratch_load_b128 v[28:31], off, off offset:448 ; 16-byte Folded Reload
	v_mul_f64 v[0:1], v[94:95], v[0:1]
	v_fma_f64 v[55:56], v[92:93], v[2:3], -v[0:1]
	s_waitcnt lgkmcnt(0)
	v_mul_f64 v[0:1], v[113:114], v[10:11]
	v_mul_f64 v[2:3], v[113:114], v[8:9]
	scratch_load_b64 v[113:114], off, off offset:504 ; 8-byte Folded Reload
	s_waitcnt vmcnt(1)
	v_fma_f64 v[57:58], v[28:29], v[8:9], v[0:1]
	v_fma_f64 v[59:60], v[28:29], v[10:11], -v[2:3]
	scratch_load_b128 v[8:11], off, off offset:432 ; 16-byte Folded Reload
	v_mul_f64 v[0:1], v[30:31], v[18:19]
	v_mul_f64 v[2:3], v[30:31], v[16:17]
	s_waitcnt vmcnt(0)
	s_delay_alu instid0(VALU_DEP_2) | instskip(NEXT) | instid1(VALU_DEP_2)
	v_fma_f64 v[61:62], v[10:11], v[16:17], v[0:1]
	v_fma_f64 v[63:64], v[10:11], v[18:19], -v[2:3]
	v_mul_f64 v[0:1], v[8:9], v[6:7]
	v_mul_f64 v[2:3], v[8:9], v[4:5]
	scratch_load_b128 v[8:11], off, off offset:416 ; 16-byte Folded Reload
	v_add_f64 v[16:17], v[20:21], -v[24:25]
	s_waitcnt vmcnt(0)
	v_fma_f64 v[65:66], v[8:9], v[4:5], v[0:1]
	v_fma_f64 v[67:68], v[8:9], v[6:7], -v[2:3]
	v_mul_f64 v[0:1], v[10:11], v[14:15]
	v_mul_f64 v[2:3], v[10:11], v[12:13]
	v_add_f64 v[8:9], v[20:21], v[24:25]
	s_delay_alu instid0(VALU_DEP_3) | instskip(NEXT) | instid1(VALU_DEP_3)
	v_fma_f64 v[71:72], v[113:114], v[12:13], v[0:1]
	v_fma_f64 v[73:74], v[113:114], v[14:15], -v[2:3]
	ds_load_b128 v[0:3], v70
	ds_load_b128 v[4:7], v70 offset:1792
	v_add_f64 v[12:13], v[22:23], -v[26:27]
	s_waitcnt lgkmcnt(1)
	v_fma_f64 v[10:11], v[8:9], -0.5, v[0:1]
	v_add_f64 v[8:9], v[22:23], v[26:27]
	v_add_f64 v[0:1], v[0:1], v[20:21]
	s_delay_alu instid0(VALU_DEP_2) | instskip(SKIP_1) | instid1(VALU_DEP_3)
	v_fma_f64 v[14:15], v[8:9], -0.5, v[2:3]
	v_add_f64 v[2:3], v[2:3], v[22:23]
	v_add_f64 v[0:1], v[0:1], v[24:25]
	v_fma_f64 v[8:9], v[12:13], s[0:1], v[10:11]
	v_fma_f64 v[12:13], v[12:13], s[8:9], v[10:11]
	;; [unrolled: 1-line block ×3, first 2 shown]
	v_add_f64 v[2:3], v[2:3], v[26:27]
	v_fma_f64 v[14:15], v[16:17], s[0:1], v[14:15]
	ds_load_b128 v[16:19], v70 offset:3584
	ds_load_b128 v[20:23], v70 offset:5376
	;; [unrolled: 1-line block ×4, first 2 shown]
	s_waitcnt lgkmcnt(0)
	s_barrier
	buffer_gl0_inv
	scratch_load_b32 v69, off, off offset:500 ; 4-byte Folded Reload
	s_waitcnt vmcnt(0)
	ds_store_b128 v69, v[0:3]
	ds_store_b128 v69, v[8:11] offset:512
	ds_store_b128 v69, v[12:15] offset:1024
	v_add_f64 v[0:1], v[71:72], v[61:62]
	v_add_f64 v[12:13], v[71:72], -v[61:62]
	s_delay_alu instid0(VALU_DEP_2) | instskip(SKIP_2) | instid1(VALU_DEP_2)
	v_fma_f64 v[8:9], v[0:1], -0.5, v[4:5]
	v_add_f64 v[0:1], v[73:74], v[63:64]
	v_add_f64 v[4:5], v[4:5], v[71:72]
	v_fma_f64 v[10:11], v[0:1], -0.5, v[6:7]
	v_add_f64 v[0:1], v[6:7], v[73:74]
	v_add_f64 v[6:7], v[73:74], -v[63:64]
	s_delay_alu instid0(VALU_DEP_2) | instskip(SKIP_1) | instid1(VALU_DEP_3)
	v_add_f64 v[2:3], v[0:1], v[63:64]
	v_add_f64 v[0:1], v[4:5], v[61:62]
	v_fma_f64 v[4:5], v[6:7], s[0:1], v[8:9]
	v_fma_f64 v[8:9], v[6:7], s[8:9], v[8:9]
	v_fma_f64 v[6:7], v[12:13], s[8:9], v[10:11]
	v_fma_f64 v[10:11], v[12:13], s[0:1], v[10:11]
	scratch_load_b32 v12, off, off offset:620 ; 4-byte Folded Reload
	s_waitcnt vmcnt(0)
	ds_store_b128 v12, v[0:3]
	ds_store_b128 v12, v[4:7] offset:512
	ds_store_b128 v12, v[8:11] offset:1024
	v_add_f64 v[0:1], v[41:42], v[49:50]
	v_add_f64 v[4:5], v[16:17], v[41:42]
	v_add_f64 v[8:9], v[43:44], -v[51:52]
	v_add_f64 v[12:13], v[41:42], -v[49:50]
	s_delay_alu instid0(VALU_DEP_4) | instskip(SKIP_1) | instid1(VALU_DEP_1)
	v_fma_f64 v[6:7], v[0:1], -0.5, v[16:17]
	v_add_f64 v[0:1], v[43:44], v[51:52]
	v_fma_f64 v[10:11], v[0:1], -0.5, v[18:19]
	v_add_f64 v[0:1], v[18:19], v[43:44]
	s_delay_alu instid0(VALU_DEP_1)
	v_add_f64 v[2:3], v[0:1], v[51:52]
	v_add_f64 v[0:1], v[4:5], v[49:50]
	v_fma_f64 v[4:5], v[8:9], s[0:1], v[6:7]
	v_fma_f64 v[8:9], v[8:9], s[8:9], v[6:7]
	v_fma_f64 v[6:7], v[12:13], s[8:9], v[10:11]
	v_fma_f64 v[10:11], v[12:13], s[0:1], v[10:11]
	scratch_load_b32 v12, off, off offset:616 ; 4-byte Folded Reload
	s_waitcnt vmcnt(0)
	ds_store_b128 v12, v[0:3]
	ds_store_b128 v12, v[4:7] offset:512
	ds_store_b128 v12, v[8:11] offset:1024
	v_add_f64 v[0:1], v[33:34], v[37:38]
	v_add_f64 v[4:5], v[20:21], v[33:34]
	v_add_f64 v[8:9], v[35:36], -v[39:40]
	v_add_f64 v[12:13], v[33:34], -v[37:38]
	s_delay_alu instid0(VALU_DEP_4) | instskip(SKIP_1) | instid1(VALU_DEP_1)
	v_fma_f64 v[6:7], v[0:1], -0.5, v[20:21]
	v_add_f64 v[0:1], v[35:36], v[39:40]
	v_fma_f64 v[10:11], v[0:1], -0.5, v[22:23]
	v_add_f64 v[0:1], v[22:23], v[35:36]
	s_delay_alu instid0(VALU_DEP_1)
	;; [unrolled: 21-line block ×4, first 2 shown]
	v_add_f64 v[2:3], v[0:1], v[59:60]
	v_add_f64 v[0:1], v[4:5], v[57:58]
	v_fma_f64 v[4:5], v[8:9], s[0:1], v[6:7]
	v_fma_f64 v[8:9], v[8:9], s[8:9], v[6:7]
	;; [unrolled: 1-line block ×4, first 2 shown]
	scratch_load_b32 v12, off, off offset:596 ; 4-byte Folded Reload
	s_waitcnt vmcnt(0)
	ds_store_b128 v12, v[0:3]
	ds_store_b128 v12, v[4:7] offset:512
	ds_store_b128 v12, v[8:11] offset:1024
	s_waitcnt lgkmcnt(0)
	s_barrier
	buffer_gl0_inv
	ds_load_b128 v[0:3], v70 offset:10752
	ds_load_b128 v[4:7], v70 offset:12544
	scratch_load_b128 v[14:17], off, off offset:512 ; 16-byte Folded Reload
	s_waitcnt vmcnt(0) lgkmcnt(1)
	v_mul_f64 v[8:9], v[16:17], v[2:3]
	v_mul_f64 v[10:11], v[16:17], v[0:1]
	s_delay_alu instid0(VALU_DEP_2) | instskip(NEXT) | instid1(VALU_DEP_2)
	v_fma_f64 v[12:13], v[14:15], v[0:1], v[8:9]
	v_fma_f64 v[14:15], v[14:15], v[2:3], -v[10:11]
	ds_load_b128 v[0:3], v70 offset:21504
	ds_load_b128 v[8:11], v70 offset:23296
	s_waitcnt lgkmcnt(1)
	v_mul_f64 v[16:17], v[126:127], v[2:3]
	s_delay_alu instid0(VALU_DEP_1) | instskip(SKIP_1) | instid1(VALU_DEP_1)
	v_fma_f64 v[16:17], v[124:125], v[0:1], v[16:17]
	v_mul_f64 v[0:1], v[126:127], v[0:1]
	v_fma_f64 v[18:19], v[124:125], v[2:3], -v[0:1]
	v_mul_f64 v[0:1], v[142:143], v[6:7]
	v_mul_f64 v[2:3], v[142:143], v[4:5]
	s_delay_alu instid0(VALU_DEP_3) | instskip(NEXT) | instid1(VALU_DEP_3)
	v_add_f64 v[22:23], v[14:15], v[18:19]
	v_fma_f64 v[33:34], v[140:141], v[4:5], v[0:1]
	s_delay_alu instid0(VALU_DEP_3)
	v_fma_f64 v[35:36], v[140:141], v[6:7], -v[2:3]
	s_waitcnt lgkmcnt(0)
	v_mul_f64 v[4:5], v[130:131], v[10:11]
	v_mul_f64 v[6:7], v[130:131], v[8:9]
	ds_load_b128 v[0:3], v70 offset:14336
	v_fma_f64 v[37:38], v[128:129], v[8:9], v[4:5]
	v_fma_f64 v[39:40], v[128:129], v[10:11], -v[6:7]
	ds_load_b128 v[4:7], v70 offset:16128
	s_waitcnt lgkmcnt(1)
	v_mul_f64 v[8:9], v[138:139], v[2:3]
	v_mul_f64 v[10:11], v[138:139], v[0:1]
	s_delay_alu instid0(VALU_DEP_2) | instskip(NEXT) | instid1(VALU_DEP_2)
	v_fma_f64 v[41:42], v[136:137], v[0:1], v[8:9]
	v_fma_f64 v[43:44], v[136:137], v[2:3], -v[10:11]
	ds_load_b128 v[0:3], v70 offset:25088
	ds_load_b128 v[8:11], v70 offset:26880
	s_waitcnt lgkmcnt(1)
	v_mul_f64 v[20:21], v[134:135], v[2:3]
	s_delay_alu instid0(VALU_DEP_1) | instskip(SKIP_1) | instid1(VALU_DEP_1)
	v_fma_f64 v[45:46], v[132:133], v[0:1], v[20:21]
	v_mul_f64 v[0:1], v[134:135], v[0:1]
	v_fma_f64 v[47:48], v[132:133], v[2:3], -v[0:1]
	v_mul_f64 v[0:1], v[150:151], v[6:7]
	v_mul_f64 v[2:3], v[150:151], v[4:5]
	s_delay_alu instid0(VALU_DEP_2) | instskip(NEXT) | instid1(VALU_DEP_2)
	v_fma_f64 v[49:50], v[148:149], v[4:5], v[0:1]
	v_fma_f64 v[51:52], v[148:149], v[6:7], -v[2:3]
	s_waitcnt lgkmcnt(0)
	v_mul_f64 v[4:5], v[146:147], v[10:11]
	v_mul_f64 v[6:7], v[146:147], v[8:9]
	ds_load_b128 v[0:3], v70 offset:17920
	v_fma_f64 v[53:54], v[144:145], v[8:9], v[4:5]
	v_fma_f64 v[55:56], v[144:145], v[10:11], -v[6:7]
	ds_load_b128 v[4:7], v70 offset:19712
	s_waitcnt lgkmcnt(1)
	v_mul_f64 v[8:9], v[154:155], v[2:3]
	v_mul_f64 v[10:11], v[154:155], v[0:1]
	s_delay_alu instid0(VALU_DEP_2) | instskip(NEXT) | instid1(VALU_DEP_2)
	v_fma_f64 v[57:58], v[152:153], v[0:1], v[8:9]
	v_fma_f64 v[59:60], v[152:153], v[2:3], -v[10:11]
	ds_load_b128 v[0:3], v70 offset:28672
	ds_load_b128 v[8:11], v70 offset:30464
	s_waitcnt lgkmcnt(1)
	v_mul_f64 v[20:21], v[162:163], v[2:3]
	s_delay_alu instid0(VALU_DEP_1) | instskip(SKIP_2) | instid1(VALU_DEP_2)
	v_fma_f64 v[61:62], v[160:161], v[0:1], v[20:21]
	v_mul_f64 v[0:1], v[162:163], v[0:1]
	v_add_f64 v[20:21], v[12:13], v[16:17]
	v_fma_f64 v[63:64], v[160:161], v[2:3], -v[0:1]
	v_mul_f64 v[0:1], v[186:187], v[6:7]
	v_mul_f64 v[2:3], v[186:187], v[4:5]
	s_delay_alu instid0(VALU_DEP_2) | instskip(NEXT) | instid1(VALU_DEP_2)
	v_fma_f64 v[65:66], v[184:185], v[4:5], v[0:1]
	v_fma_f64 v[67:68], v[184:185], v[6:7], -v[2:3]
	s_waitcnt lgkmcnt(0)
	v_mul_f64 v[0:1], v[118:119], v[10:11]
	v_mul_f64 v[2:3], v[118:119], v[8:9]
	s_delay_alu instid0(VALU_DEP_2) | instskip(NEXT) | instid1(VALU_DEP_2)
	v_fma_f64 v[80:81], v[116:117], v[8:9], v[0:1]
	v_fma_f64 v[76:77], v[116:117], v[10:11], -v[2:3]
	ds_load_b128 v[0:3], v70
	ds_load_b128 v[4:7], v70 offset:1792
	s_waitcnt lgkmcnt(1)
	v_fma_f64 v[10:11], v[20:21], -0.5, v[0:1]
	v_fma_f64 v[20:21], v[22:23], -0.5, v[2:3]
	v_add_f64 v[2:3], v[2:3], v[14:15]
	v_add_f64 v[0:1], v[0:1], v[12:13]
	v_add_f64 v[14:15], v[14:15], -v[18:19]
	v_add_f64 v[22:23], v[12:13], -v[16:17]
	s_delay_alu instid0(VALU_DEP_4) | instskip(NEXT) | instid1(VALU_DEP_4)
	v_add_f64 v[2:3], v[2:3], v[18:19]
	v_add_f64 v[0:1], v[0:1], v[16:17]
	s_delay_alu instid0(VALU_DEP_4)
	v_fma_f64 v[8:9], v[14:15], s[0:1], v[10:11]
	v_fma_f64 v[12:13], v[14:15], s[8:9], v[10:11]
	;; [unrolled: 1-line block ×4, first 2 shown]
	ds_load_b128 v[16:19], v70 offset:3584
	ds_load_b128 v[20:23], v70 offset:5376
	;; [unrolled: 1-line block ×4, first 2 shown]
	s_waitcnt lgkmcnt(0)
	s_barrier
	buffer_gl0_inv
	scratch_load_b32 v69, off, off offset:608 ; 4-byte Folded Reload
	s_waitcnt vmcnt(0)
	ds_store_b128 v69, v[0:3]
	ds_store_b128 v69, v[8:11] offset:1536
	ds_store_b128 v69, v[12:15] offset:3072
	v_add_f64 v[0:1], v[33:34], v[37:38]
	v_add_f64 v[12:13], v[33:34], -v[37:38]
	s_delay_alu instid0(VALU_DEP_2) | instskip(SKIP_2) | instid1(VALU_DEP_2)
	v_fma_f64 v[8:9], v[0:1], -0.5, v[4:5]
	v_add_f64 v[0:1], v[35:36], v[39:40]
	v_add_f64 v[4:5], v[4:5], v[33:34]
	v_fma_f64 v[10:11], v[0:1], -0.5, v[6:7]
	v_add_f64 v[0:1], v[6:7], v[35:36]
	v_add_f64 v[6:7], v[35:36], -v[39:40]
	s_delay_alu instid0(VALU_DEP_2) | instskip(SKIP_1) | instid1(VALU_DEP_3)
	v_add_f64 v[2:3], v[0:1], v[39:40]
	v_add_f64 v[0:1], v[4:5], v[37:38]
	v_fma_f64 v[4:5], v[6:7], s[0:1], v[8:9]
	v_fma_f64 v[8:9], v[6:7], s[8:9], v[8:9]
	;; [unrolled: 1-line block ×4, first 2 shown]
	v_add_f64 v[12:13], v[41:42], v[45:46]
	v_add_f64 v[37:38], v[41:42], -v[45:46]
	s_delay_alu instid0(VALU_DEP_2) | instskip(SKIP_3) | instid1(VALU_DEP_3)
	v_fma_f64 v[33:34], v[12:13], -0.5, v[16:17]
	v_add_f64 v[12:13], v[43:44], v[47:48]
	v_add_f64 v[16:17], v[16:17], v[41:42]
	v_add_f64 v[41:42], v[51:52], -v[55:56]
	v_fma_f64 v[35:36], v[12:13], -0.5, v[18:19]
	v_add_f64 v[12:13], v[18:19], v[43:44]
	v_add_f64 v[18:19], v[43:44], -v[47:48]
	s_delay_alu instid0(VALU_DEP_2) | instskip(SKIP_1) | instid1(VALU_DEP_3)
	v_add_f64 v[14:15], v[12:13], v[47:48]
	v_add_f64 v[12:13], v[16:17], v[45:46]
	v_fma_f64 v[16:17], v[18:19], s[0:1], v[33:34]
	v_fma_f64 v[33:34], v[18:19], s[8:9], v[33:34]
	;; [unrolled: 1-line block ×4, first 2 shown]
	v_add_f64 v[37:38], v[49:50], v[53:54]
	v_add_f64 v[45:46], v[49:50], -v[53:54]
	s_delay_alu instid0(VALU_DEP_2) | instskip(SKIP_2) | instid1(VALU_DEP_2)
	v_fma_f64 v[39:40], v[37:38], -0.5, v[20:21]
	v_add_f64 v[37:38], v[51:52], v[55:56]
	v_add_f64 v[20:21], v[20:21], v[49:50]
	v_fma_f64 v[43:44], v[37:38], -0.5, v[22:23]
	s_delay_alu instid0(VALU_DEP_4)
	v_fma_f64 v[37:38], v[41:42], s[0:1], v[39:40]
	v_fma_f64 v[41:42], v[41:42], s[8:9], v[39:40]
	v_add_f64 v[22:23], v[22:23], v[51:52]
	v_add_f64 v[20:21], v[20:21], v[53:54]
	v_add_f64 v[51:52], v[59:60], -v[63:64]
	v_add_f64 v[53:54], v[57:58], -v[61:62]
	v_fma_f64 v[39:40], v[45:46], s[8:9], v[43:44]
	v_fma_f64 v[43:44], v[45:46], s[0:1], v[43:44]
	v_add_f64 v[45:46], v[57:58], v[61:62]
	v_add_f64 v[22:23], v[22:23], v[55:56]
	s_delay_alu instid0(VALU_DEP_2) | instskip(SKIP_2) | instid1(VALU_DEP_3)
	v_fma_f64 v[47:48], v[45:46], -0.5, v[24:25]
	v_add_f64 v[45:46], v[59:60], v[63:64]
	v_add_f64 v[24:25], v[24:25], v[57:58]
	v_fma_f64 v[72:73], v[51:52], s[8:9], v[47:48]
	s_delay_alu instid0(VALU_DEP_3)
	v_fma_f64 v[49:50], v[45:46], -0.5, v[26:27]
	v_fma_f64 v[45:46], v[51:52], s[0:1], v[47:48]
	v_add_f64 v[51:52], v[67:68], v[76:77]
	v_add_f64 v[26:27], v[26:27], v[59:60]
	;; [unrolled: 1-line block ×3, first 2 shown]
	v_fma_f64 v[47:48], v[53:54], s[8:9], v[49:50]
	v_fma_f64 v[74:75], v[53:54], s[0:1], v[49:50]
	v_add_f64 v[49:50], v[65:66], v[80:81]
	v_fma_f64 v[51:52], v[51:52], -0.5, v[30:31]
	v_add_f64 v[30:31], v[30:31], v[67:68]
	v_add_f64 v[53:54], v[67:68], -v[76:77]
	v_add_f64 v[26:27], v[26:27], v[63:64]
	v_fma_f64 v[49:50], v[49:50], -0.5, v[28:29]
	v_add_f64 v[28:29], v[28:29], v[65:66]
	v_add_f64 v[78:79], v[30:31], v[76:77]
	s_delay_alu instid0(VALU_DEP_3) | instskip(NEXT) | instid1(VALU_DEP_3)
	v_fma_f64 v[84:85], v[53:54], s[8:9], v[49:50]
	v_add_f64 v[76:77], v[28:29], v[80:81]
	v_add_f64 v[28:29], v[65:66], -v[80:81]
	v_fma_f64 v[80:81], v[53:54], s[0:1], v[49:50]
	s_delay_alu instid0(VALU_DEP_2)
	v_fma_f64 v[82:83], v[28:29], s[8:9], v[51:52]
	v_fma_f64 v[86:87], v[28:29], s[0:1], v[51:52]
	scratch_load_b32 v28, off, off offset:580 ; 4-byte Folded Reload
	s_waitcnt vmcnt(0)
	ds_store_b128 v28, v[0:3]
	ds_store_b128 v28, v[4:7] offset:1536
	ds_store_b128 v28, v[8:11] offset:3072
	scratch_load_b32 v0, off, off offset:584 ; 4-byte Folded Reload
	s_waitcnt vmcnt(0)
	ds_store_b128 v0, v[12:15]
	ds_store_b128 v0, v[16:19] offset:1536
	ds_store_b128 v0, v[33:36] offset:3072
	;; [unrolled: 5-line block ×5, first 2 shown]
	s_waitcnt lgkmcnt(0)
	s_barrier
	buffer_gl0_inv
	ds_load_b128 v[4:7], v70
	ds_load_b128 v[0:3], v70 offset:1792
	ds_load_b128 v[112:115], v70 offset:4608
	;; [unrolled: 1-line block ×13, first 2 shown]
	s_and_saveexec_b32 s0, vcc_lo
	s_cbranch_execz .LBB0_7
; %bb.6:
	ds_load_b128 v[72:75], v70 offset:3584
	ds_load_b128 v[76:79], v70 offset:8192
	;; [unrolled: 1-line block ×7, first 2 shown]
.LBB0_7:
	s_or_b32 exec_lo, exec_lo, s0
	s_waitcnt lgkmcnt(11)
	v_mul_f64 v[16:17], v[190:191], v[114:115]
	v_mul_f64 v[18:19], v[190:191], v[112:113]
	s_waitcnt lgkmcnt(9)
	v_mul_f64 v[20:21], v[202:203], v[118:119]
	v_mul_f64 v[22:23], v[202:203], v[116:117]
	s_waitcnt lgkmcnt(1)
	v_mul_f64 v[24:25], v[210:211], v[126:127]
	v_mul_f64 v[26:27], v[210:211], v[124:125]
	v_mul_f64 v[28:29], v[206:207], v[122:123]
	v_mul_f64 v[30:31], v[206:207], v[120:121]
	;; [unrolled: 1-line block ×6, first 2 shown]
	s_waitcnt lgkmcnt(0)
	v_mul_f64 v[41:42], v[234:235], v[110:111]
	v_mul_f64 v[43:44], v[234:235], v[108:109]
	;; [unrolled: 1-line block ×12, first 2 shown]
	s_mov_b32 s12, 0x37e14327
	s_mov_b32 s14, 0xe976ee23
	;; [unrolled: 1-line block ×14, first 2 shown]
	v_fma_f64 v[16:17], v[188:189], v[112:113], v[16:17]
	v_fma_f64 v[18:19], v[188:189], v[114:115], -v[18:19]
	v_fma_f64 v[20:21], v[200:201], v[116:117], v[20:21]
	v_fma_f64 v[22:23], v[200:201], v[118:119], -v[22:23]
	;; [unrolled: 2-line block ×12, first 2 shown]
	s_mov_b32 s19, 0xbfe77f67
	s_mov_b32 s23, 0x3fd5d0dc
	;; [unrolled: 1-line block ×6, first 2 shown]
	v_add_f64 v[65:66], v[16:17], v[24:25]
	v_add_f64 v[67:68], v[18:19], v[26:27]
	;; [unrolled: 1-line block ×4, first 2 shown]
	v_add_f64 v[20:21], v[20:21], -v[28:29]
	v_add_f64 v[22:23], v[22:23], -v[30:31]
	;; [unrolled: 1-line block ×4, first 2 shown]
	v_add_f64 v[57:58], v[33:34], v[41:42]
	v_add_f64 v[59:60], v[35:36], v[43:44]
	;; [unrolled: 1-line block ×4, first 2 shown]
	v_add_f64 v[37:38], v[37:38], -v[45:46]
	v_add_f64 v[39:40], v[39:40], -v[47:48]
	v_add_f64 v[92:93], v[49:50], v[53:54]
	v_add_f64 v[94:95], v[51:52], v[55:56]
	v_add_f64 v[28:29], v[53:54], -v[49:50]
	v_add_f64 v[30:31], v[55:56], -v[51:52]
	v_add_f64 v[45:46], v[8:9], v[12:13]
	v_add_f64 v[47:48], v[10:11], v[14:15]
	v_add_f64 v[8:9], v[12:13], -v[8:9]
	v_add_f64 v[10:11], v[14:15], -v[10:11]
	;; [unrolled: 1-line block ×4, first 2 shown]
	v_add_f64 v[24:25], v[88:89], v[65:66]
	v_add_f64 v[26:27], v[90:91], v[67:68]
	v_add_f64 v[96:97], v[20:21], -v[16:17]
	v_add_f64 v[98:99], v[22:23], -v[18:19]
	v_add_f64 v[33:34], v[61:62], v[57:58]
	v_add_f64 v[35:36], v[63:64], v[59:60]
	v_add_f64 v[41:42], v[65:66], -v[92:93]
	v_add_f64 v[43:44], v[67:68], -v[94:95]
	;; [unrolled: 1-line block ×10, first 2 shown]
	v_add_f64 v[20:21], v[28:29], v[20:21]
	v_add_f64 v[22:23], v[30:31], v[22:23]
	v_add_f64 v[28:29], v[16:17], -v[28:29]
	v_add_f64 v[30:31], v[18:19], -v[30:31]
	;; [unrolled: 1-line block ×4, first 2 shown]
	v_add_f64 v[37:38], v[8:9], v[37:38]
	v_add_f64 v[39:40], v[10:11], v[39:40]
	v_add_f64 v[8:9], v[12:13], -v[8:9]
	v_add_f64 v[10:11], v[14:15], -v[10:11]
	v_add_f64 v[24:25], v[92:93], v[24:25]
	v_add_f64 v[26:27], v[94:95], v[26:27]
	v_add_f64 v[92:93], v[57:58], -v[45:46]
	v_add_f64 v[94:95], v[59:60], -v[47:48]
	v_mul_f64 v[108:109], v[96:97], s[0:1]
	v_mul_f64 v[110:111], v[98:99], s[0:1]
	v_add_f64 v[57:58], v[61:62], -v[57:58]
	v_add_f64 v[59:60], v[63:64], -v[59:60]
	v_add_f64 v[33:34], v[45:46], v[33:34]
	v_add_f64 v[35:36], v[47:48], v[35:36]
	v_add_f64 v[45:46], v[45:46], -v[61:62]
	v_add_f64 v[47:48], v[47:48], -v[63:64]
	v_mul_f64 v[41:42], v[41:42], s[12:13]
	v_mul_f64 v[43:44], v[43:44], s[12:13]
	;; [unrolled: 1-line block ×10, first 2 shown]
	v_add_f64 v[16:17], v[20:21], v[16:17]
	v_add_f64 v[18:19], v[22:23], v[18:19]
	;; [unrolled: 1-line block ×6, first 2 shown]
	v_mul_f64 v[92:93], v[92:93], s[12:13]
	v_mul_f64 v[94:95], v[94:95], s[12:13]
	v_add_f64 v[0:1], v[0:1], v[33:34]
	v_add_f64 v[2:3], v[2:3], v[35:36]
	v_mul_f64 v[61:62], v[45:46], s[8:9]
	v_mul_f64 v[63:64], v[47:48], s[8:9]
	v_fma_f64 v[20:21], v[49:50], s[8:9], v[41:42]
	v_fma_f64 v[22:23], v[51:52], s[8:9], v[43:44]
	;; [unrolled: 1-line block ×4, first 2 shown]
	v_fma_f64 v[28:29], v[28:29], s[22:23], -v[108:109]
	v_fma_f64 v[30:31], v[30:31], s[22:23], -v[110:111]
	;; [unrolled: 1-line block ×8, first 2 shown]
	v_fma_f64 v[65:66], v[8:9], s[20:21], v[100:101]
	v_fma_f64 v[67:68], v[10:11], s[20:21], v[102:103]
	v_fma_f64 v[8:9], v[8:9], s[22:23], -v[112:113]
	v_fma_f64 v[10:11], v[10:11], s[22:23], -v[114:115]
	;; [unrolled: 1-line block ×4, first 2 shown]
	v_fma_f64 v[24:25], v[24:25], s[10:11], v[4:5]
	v_fma_f64 v[26:27], v[26:27], s[10:11], v[6:7]
	;; [unrolled: 1-line block ×4, first 2 shown]
	v_fma_f64 v[92:93], v[57:58], s[18:19], -v[92:93]
	v_fma_f64 v[94:95], v[59:60], s[18:19], -v[94:95]
	v_fma_f64 v[33:34], v[33:34], s[10:11], v[0:1]
	v_fma_f64 v[35:36], v[35:36], s[10:11], v[2:3]
	v_fma_f64 v[57:58], v[57:58], s[16:17], -v[61:62]
	v_fma_f64 v[59:60], v[59:60], s[16:17], -v[63:64]
	v_fma_f64 v[49:50], v[16:17], s[24:25], v[49:50]
	v_fma_f64 v[51:52], v[18:19], s[24:25], v[51:52]
	;; [unrolled: 1-line block ×12, first 2 shown]
	v_add_f64 v[61:62], v[20:21], v[24:25]
	v_add_f64 v[63:64], v[22:23], v[26:27]
	;; [unrolled: 1-line block ×13, first 2 shown]
	v_add_f64 v[10:11], v[63:64], -v[49:50]
	v_add_f64 v[12:13], v[30:31], v[41:42]
	v_add_f64 v[14:15], v[43:44], -v[28:29]
	v_add_f64 v[16:17], v[20:21], -v[55:56]
	v_add_f64 v[18:19], v[53:54], v[22:23]
	v_add_f64 v[20:21], v[55:56], v[20:21]
	v_add_f64 v[22:23], v[22:23], -v[53:54]
	v_add_f64 v[24:25], v[41:42], -v[30:31]
	v_add_f64 v[26:27], v[28:29], v[43:44]
	v_add_f64 v[28:29], v[61:62], -v[51:52]
	v_add_f64 v[30:31], v[49:50], v[63:64]
	v_add_f64 v[33:34], v[67:68], v[100:101]
	v_add_f64 v[35:36], v[102:103], -v[65:66]
	v_add_f64 v[37:38], v[98:99], v[92:93]
	v_add_f64 v[39:40], v[94:95], -v[96:97]
	v_add_f64 v[41:42], v[45:46], -v[90:91]
	v_add_f64 v[43:44], v[88:89], v[47:48]
	v_add_f64 v[45:46], v[90:91], v[45:46]
	v_add_f64 v[47:48], v[47:48], -v[88:89]
	v_add_f64 v[49:50], v[92:93], -v[98:99]
	v_add_f64 v[51:52], v[96:97], v[94:95]
	v_add_f64 v[53:54], v[100:101], -v[67:68]
	v_add_f64 v[55:56], v[65:66], v[102:103]
	ds_store_b128 v70, v[4:7]
	ds_store_b128 v32, v[8:11] offset:4608
	ds_store_b128 v32, v[12:15] offset:9216
	;; [unrolled: 1-line block ×13, first 2 shown]
	s_and_saveexec_b32 s26, vcc_lo
	s_cbranch_execz .LBB0_9
; %bb.8:
	s_clause 0x4
	scratch_load_b128 v[24:27], off, off offset:624
	scratch_load_b128 v[33:36], off, off offset:656
	;; [unrolled: 1-line block ×5, first 2 shown]
	s_waitcnt vmcnt(4)
	v_mul_f64 v[2:3], v[26:27], v[76:77]
	v_mul_f64 v[8:9], v[26:27], v[78:79]
	scratch_load_b128 v[26:29], off, off offset:640 ; 16-byte Folded Reload
	s_waitcnt vmcnt(3)
	v_mul_f64 v[0:1], v[47:48], v[173:174]
	s_waitcnt vmcnt(2)
	v_mul_f64 v[4:5], v[43:44], v[169:170]
	;; [unrolled: 2-line block ×3, first 2 shown]
	v_mul_f64 v[10:11], v[47:48], v[175:176]
	v_mul_f64 v[12:13], v[39:40], v[82:83]
	;; [unrolled: 1-line block ×5, first 2 shown]
	v_fma_f64 v[2:3], v[24:25], v[78:79], -v[2:3]
	v_fma_f64 v[8:9], v[24:25], v[76:77], v[8:9]
	v_fma_f64 v[0:1], v[45:46], v[175:176], -v[0:1]
	v_fma_f64 v[4:5], v[41:42], v[171:172], -v[4:5]
	;; [unrolled: 1-line block ×3, first 2 shown]
	v_fma_f64 v[10:11], v[45:46], v[173:174], v[10:11]
	v_fma_f64 v[12:13], v[37:38], v[80:81], v[12:13]
	;; [unrolled: 1-line block ×4, first 2 shown]
	v_fma_f64 v[20:21], v[33:34], v[86:87], -v[20:21]
	v_add_f64 v[24:25], v[2:3], v[0:1]
	s_delay_alu instid0(VALU_DEP_4)
	v_add_f64 v[30:31], v[12:13], v[14:15]
	v_add_f64 v[12:13], v[12:13], -v[14:15]
	s_waitcnt vmcnt(0)
	v_mul_f64 v[16:17], v[28:29], v[167:168]
	v_mul_f64 v[22:23], v[28:29], v[165:166]
	v_add_f64 v[28:29], v[8:9], v[10:11]
	v_add_f64 v[8:9], v[8:9], -v[10:11]
	s_delay_alu instid0(VALU_DEP_4) | instskip(NEXT) | instid1(VALU_DEP_4)
	v_fma_f64 v[16:17], v[26:27], v[165:166], v[16:17]
	v_fma_f64 v[22:23], v[26:27], v[167:168], -v[22:23]
	v_add_f64 v[26:27], v[6:7], v[4:5]
	v_add_f64 v[4:5], v[6:7], -v[4:5]
	v_add_f64 v[6:7], v[2:3], -v[0:1]
	v_add_f64 v[0:1], v[30:31], v[28:29]
	v_add_f64 v[35:36], v[12:13], -v[8:9]
	v_add_f64 v[33:34], v[16:17], -v[18:19]
	v_add_f64 v[14:15], v[20:21], v[22:23]
	v_add_f64 v[16:17], v[18:19], v[16:17]
	;; [unrolled: 1-line block ×3, first 2 shown]
	v_add_f64 v[18:19], v[22:23], -v[20:21]
	v_add_f64 v[39:40], v[4:5], -v[6:7]
	v_mul_f64 v[45:46], v[35:36], s[0:1]
	v_add_f64 v[2:3], v[33:34], -v[12:13]
	v_add_f64 v[20:21], v[24:25], -v[14:15]
	;; [unrolled: 1-line block ×3, first 2 shown]
	v_add_f64 v[10:11], v[14:15], v[10:11]
	v_add_f64 v[14:15], v[14:15], -v[26:27]
	v_add_f64 v[37:38], v[18:19], -v[4:5]
	v_add_f64 v[41:42], v[16:17], v[0:1]
	v_add_f64 v[16:17], v[16:17], -v[30:31]
	v_add_f64 v[43:44], v[8:9], -v[33:34]
	v_add_f64 v[12:13], v[33:34], v[12:13]
	v_add_f64 v[4:5], v[18:19], v[4:5]
	v_add_f64 v[18:19], v[6:7], -v[18:19]
	v_add_f64 v[24:25], v[26:27], -v[24:25]
	v_mul_f64 v[47:48], v[39:40], s[0:1]
	v_add_f64 v[28:29], v[30:31], -v[28:29]
	v_mul_f64 v[33:34], v[2:3], s[14:15]
	v_mul_f64 v[20:21], v[20:21], s[12:13]
	;; [unrolled: 1-line block ×3, first 2 shown]
	v_add_f64 v[2:3], v[74:75], v[10:11]
	v_mul_f64 v[26:27], v[14:15], s[8:9]
	v_mul_f64 v[37:38], v[37:38], s[14:15]
	v_add_f64 v[0:1], v[72:73], v[41:42]
	v_mul_f64 v[30:31], v[16:17], s[8:9]
	v_add_f64 v[8:9], v[12:13], v[8:9]
	v_add_f64 v[4:5], v[4:5], v[6:7]
	v_fma_f64 v[6:7], v[43:44], s[20:21], v[33:34]
	v_fma_f64 v[12:13], v[14:15], s[8:9], v[20:21]
	;; [unrolled: 1-line block ×3, first 2 shown]
	v_fma_f64 v[16:17], v[43:44], s[22:23], -v[45:46]
	v_fma_f64 v[33:34], v[35:36], s[0:1], -v[33:34]
	v_fma_f64 v[10:11], v[10:11], s[10:11], v[2:3]
	v_fma_f64 v[20:21], v[24:25], s[18:19], -v[20:21]
	v_fma_f64 v[24:25], v[24:25], s[16:17], -v[26:27]
	v_fma_f64 v[26:27], v[18:19], s[20:21], v[37:38]
	;; [unrolled: 3-line block ×4, first 2 shown]
	v_fma_f64 v[16:17], v[8:9], s[24:25], v[16:17]
	v_fma_f64 v[8:9], v[8:9], s[24:25], v[33:34]
	v_add_f64 v[12:13], v[12:13], v[10:11]
	v_add_f64 v[20:21], v[20:21], v[10:11]
	;; [unrolled: 1-line block ×3, first 2 shown]
	v_fma_f64 v[33:34], v[4:5], s[24:25], v[26:27]
	v_fma_f64 v[39:40], v[4:5], s[24:25], v[18:19]
	v_fma_f64 v[4:5], v[4:5], s[24:25], v[35:36]
	v_add_f64 v[35:36], v[14:15], v[37:38]
	v_add_f64 v[41:42], v[22:23], v[37:38]
	;; [unrolled: 1-line block ×3, first 2 shown]
	v_add_f64 v[26:27], v[12:13], -v[30:31]
	v_add_f64 v[10:11], v[16:17], v[20:21]
	v_add_f64 v[14:15], v[24:25], -v[8:9]
	v_add_f64 v[18:19], v[8:9], v[24:25]
	;; [unrolled: 2-line block ×3, first 2 shown]
	v_add_f64 v[24:25], v[33:34], v[35:36]
	v_add_f64 v[20:21], v[39:40], v[41:42]
	v_add_f64 v[16:17], v[28:29], -v[4:5]
	v_add_f64 v[12:13], v[4:5], v[28:29]
	v_add_f64 v[8:9], v[41:42], -v[39:40]
	v_add_f64 v[4:5], v[35:36], -v[33:34]
	ds_store_b128 v70, v[0:3] offset:3584
	ds_store_b128 v32, v[24:27] offset:8192
	;; [unrolled: 1-line block ×7, first 2 shown]
.LBB0_9:
	s_or_b32 exec_lo, exec_lo, s26
	s_waitcnt lgkmcnt(0)
	s_barrier
	buffer_gl0_inv
	ds_load_b128 v[0:3], v70
	ds_load_b128 v[4:7], v70 offset:16128
	ds_load_b128 v[8:11], v70 offset:1792
	;; [unrolled: 1-line block ×3, first 2 shown]
	scratch_load_b64 v[16:17], off, off     ; 8-byte Folded Reload
	v_mad_u64_u32 v[83:84], null, s4, v164, 0
	s_mov_b32 s0, 0x10410410
	s_mov_b32 s1, 0x3f404104
	s_mul_hi_u32 s8, s4, 0x3f00
	s_mul_i32 s9, s4, 0x3f00
	s_mul_hi_u32 s11, s4, 0xffffc800
	s_mul_i32 s10, s5, 0xffffc800
	s_mul_i32 s12, s4, 0xffffc800
	s_waitcnt vmcnt(0)
	v_mov_b32_e32 v87, v16
	ds_load_b128 v[16:19], v70 offset:19712
	ds_load_b128 v[20:23], v70 offset:14336
	scratch_load_b128 v[98:101], off, off offset:48 ; 16-byte Folded Reload
	ds_load_b128 v[24:27], v70 offset:3584
	ds_load_b128 v[28:31], v70 offset:5376
	v_mad_u64_u32 v[64:65], null, s6, v87, 0
	s_mul_i32 s6, s5, 0x3f00
	s_delay_alu instid0(SALU_CYCLE_1)
	s_add_i32 s8, s8, s6
	s_waitcnt vmcnt(0) lgkmcnt(7)
	v_mul_f64 v[66:67], v[100:101], v[2:3]
	v_mul_f64 v[68:69], v[100:101], v[0:1]
	scratch_load_b128 v[100:103], off, off offset:96 ; 16-byte Folded Reload
	v_mad_u64_u32 v[85:86], null, s7, v87, v[65:66]
	v_fma_f64 v[66:67], v[98:99], v[0:1], v[66:67]
	v_fma_f64 v[68:69], v[98:99], v[2:3], -v[68:69]
	s_sub_i32 s7, s11, s4
	s_delay_alu instid0(SALU_CYCLE_1)
	s_add_i32 s7, s7, s10
	s_waitcnt vmcnt(0) lgkmcnt(6)
	v_mul_f64 v[71:72], v[102:103], v[6:7]
	v_mul_f64 v[73:74], v[102:103], v[4:5]
	scratch_load_b128 v[102:105], off, off offset:112 ; 16-byte Folded Reload
	v_fma_f64 v[71:72], v[100:101], v[4:5], v[71:72]
	v_fma_f64 v[73:74], v[100:101], v[6:7], -v[73:74]
	s_waitcnt vmcnt(0) lgkmcnt(5)
	v_mul_f64 v[75:76], v[104:105], v[10:11]
	v_mul_f64 v[77:78], v[104:105], v[8:9]
	scratch_load_b128 v[104:107], off, off offset:288 ; 16-byte Folded Reload
	ds_load_b128 v[32:35], v70 offset:21504
	ds_load_b128 v[36:39], v70 offset:23296
	;; [unrolled: 1-line block ×8, first 2 shown]
	s_clause 0x2
	scratch_load_b128 v[128:131], off, off offset:224
	scratch_load_b128 v[118:121], off, off offset:192
	;; [unrolled: 1-line block ×3, first 2 shown]
	v_fma_f64 v[75:76], v[102:103], v[8:9], v[75:76]
	v_fma_f64 v[77:78], v[102:103], v[10:11], -v[77:78]
	v_mad_u64_u32 v[8:9], null, s5, v164, v[84:85]
	v_mov_b32_e32 v65, v85
	v_mul_f64 v[10:11], v[68:69], s[0:1]
	s_delay_alu instid0(VALU_DEP_3) | instskip(NEXT) | instid1(VALU_DEP_3)
	v_mov_b32_e32 v84, v8
	v_lshlrev_b64 v[8:9], 4, v[64:65]
	s_delay_alu instid0(VALU_DEP_2) | instskip(NEXT) | instid1(VALU_DEP_2)
	v_lshlrev_b64 v[83:84], 4, v[83:84]
	v_add_co_u32 v116, vcc_lo, s2, v8
	s_delay_alu instid0(VALU_DEP_3)
	v_add_co_ci_u32_e32 v117, vcc_lo, s3, v9, vcc_lo
	v_mul_f64 v[8:9], v[66:67], s[0:1]
	s_waitcnt vmcnt(3) lgkmcnt(12)
	v_mul_f64 v[79:80], v[106:107], v[14:15]
	v_mul_f64 v[81:82], v[106:107], v[12:13]
	s_waitcnt vmcnt(2) lgkmcnt(9)
	v_mul_f64 v[86:87], v[130:131], v[26:27]
	s_waitcnt vmcnt(1)
	v_mul_f64 v[90:91], v[120:121], v[18:19]
	v_mul_f64 v[92:93], v[120:121], v[16:17]
	scratch_load_b128 v[120:123], off, off offset:240 ; 16-byte Folded Reload
	s_waitcnt vmcnt(1) lgkmcnt(8)
	v_mul_f64 v[94:95], v[136:137], v[30:31]
	v_mul_f64 v[96:97], v[136:137], v[28:29]
	scratch_load_b128 v[136:139], off, off offset:272 ; 16-byte Folded Reload
	ds_load_b128 v[0:3], v70 offset:28672
	ds_load_b128 v[4:7], v70 offset:30464
	v_mul_f64 v[88:89], v[130:131], v[24:25]
	scratch_load_b128 v[130:133], off, off offset:208 ; 16-byte Folded Reload
	v_fma_f64 v[79:80], v[104:105], v[12:13], v[79:80]
	v_fma_f64 v[81:82], v[104:105], v[14:15], -v[81:82]
	v_fma_f64 v[85:86], v[128:129], v[24:25], v[86:87]
	v_mul_f64 v[12:13], v[71:72], s[0:1]
	v_mul_f64 v[14:15], v[73:74], s[0:1]
	v_fma_f64 v[66:67], v[134:135], v[30:31], -v[96:97]
	v_fma_f64 v[87:88], v[128:129], v[26:27], -v[88:89]
	v_fma_f64 v[89:90], v[118:119], v[16:17], v[90:91]
	v_fma_f64 v[91:92], v[118:119], v[18:19], -v[92:93]
	v_mul_f64 v[16:17], v[75:76], s[0:1]
	v_fma_f64 v[93:94], v[134:135], v[28:29], v[94:95]
	v_mul_f64 v[18:19], v[77:78], s[0:1]
	v_mul_f64 v[24:25], v[79:80], s[0:1]
	;; [unrolled: 1-line block ×5, first 2 shown]
	s_waitcnt vmcnt(2) lgkmcnt(7)
	v_mul_f64 v[102:103], v[122:123], v[42:43]
	v_mul_f64 v[104:105], v[122:123], v[40:41]
	scratch_load_b128 v[122:125], off, off offset:144 ; 16-byte Folded Reload
	s_waitcnt vmcnt(2)
	v_mul_f64 v[98:99], v[138:139], v[34:35]
	v_mul_f64 v[100:101], v[138:139], v[32:33]
	s_waitcnt vmcnt(1) lgkmcnt(5)
	v_mul_f64 v[112:113], v[132:133], v[50:51]
	v_mul_f64 v[114:115], v[132:133], v[48:49]
	v_fma_f64 v[72:73], v[120:121], v[40:41], v[102:103]
	v_fma_f64 v[74:75], v[120:121], v[42:43], -v[104:105]
	scratch_load_b128 v[118:121], off, off offset:128 ; 16-byte Folded Reload
	v_add_co_u32 v42, vcc_lo, v116, v83
	v_add_co_ci_u32_e32 v43, vcc_lo, v117, v84, vcc_lo
	v_fma_f64 v[68:69], v[136:137], v[32:33], v[98:99]
	s_delay_alu instid0(VALU_DEP_3) | instskip(NEXT) | instid1(VALU_DEP_3)
	v_add_co_u32 v78, vcc_lo, v42, s9
	v_add_co_ci_u32_e32 v79, vcc_lo, s8, v43, vcc_lo
	v_fma_f64 v[70:71], v[136:137], v[34:35], -v[100:101]
	s_delay_alu instid0(VALU_DEP_3) | instskip(NEXT) | instid1(VALU_DEP_3)
	v_add_co_u32 v82, vcc_lo, v78, s12
	v_add_co_ci_u32_e32 v83, vcc_lo, s7, v79, vcc_lo
	v_mul_f64 v[32:33], v[89:90], s[0:1]
	s_delay_alu instid0(VALU_DEP_3) | instskip(NEXT) | instid1(VALU_DEP_3)
	v_add_co_u32 v97, vcc_lo, v82, s9
	v_add_co_ci_u32_e32 v98, vcc_lo, s8, v83, vcc_lo
	v_mul_f64 v[34:35], v[91:92], s[0:1]
	v_mul_f64 v[40:41], v[93:94], s[0:1]
	s_delay_alu instid0(VALU_DEP_4) | instskip(NEXT) | instid1(VALU_DEP_4)
	v_add_co_u32 v101, vcc_lo, v97, s12
	v_add_co_ci_u32_e32 v102, vcc_lo, s7, v98, vcc_lo
	v_fma_f64 v[48:49], v[130:131], v[48:49], v[112:113]
	v_fma_f64 v[50:51], v[130:131], v[50:51], -v[114:115]
	s_waitcnt vmcnt(1)
	v_mul_f64 v[106:107], v[124:125], v[38:39]
	v_mul_f64 v[108:109], v[124:125], v[36:37]
	scratch_load_b128 v[124:127], off, off offset:160 ; 16-byte Folded Reload
	s_waitcnt vmcnt(1) lgkmcnt(3)
	v_mul_f64 v[76:77], v[120:121], v[58:59]
	v_mul_f64 v[80:81], v[120:121], v[56:57]
	s_delay_alu instid0(VALU_DEP_2) | instskip(NEXT) | instid1(VALU_DEP_2)
	v_fma_f64 v[56:57], v[118:119], v[56:57], v[76:77]
	v_fma_f64 v[58:59], v[118:119], v[58:59], -v[80:81]
	s_waitcnt vmcnt(0)
	v_mul_f64 v[110:111], v[126:127], v[46:47]
	v_mul_f64 v[64:65], v[126:127], v[44:45]
	scratch_load_b128 v[126:129], off, off offset:176 ; 16-byte Folded Reload
	s_clause 0x3
	global_store_b128 v[42:43], v[8:11], off
	global_store_b128 v[78:79], v[12:15], off
	;; [unrolled: 1-line block ×4, first 2 shown]
	s_clause 0x1
	scratch_load_b128 v[90:93], off, off offset:80
	scratch_load_b128 v[82:85], off, off offset:16
	v_fma_f64 v[16:17], v[122:123], v[36:37], v[106:107]
	v_fma_f64 v[18:19], v[122:123], v[38:39], -v[108:109]
	v_mul_f64 v[42:43], v[66:67], s[0:1]
	v_mul_f64 v[8:9], v[68:69], s[0:1]
	;; [unrolled: 1-line block ×5, first 2 shown]
	v_add_co_u32 v70, vcc_lo, v101, s9
	v_add_co_ci_u32_e32 v71, vcc_lo, s8, v102, vcc_lo
	v_fma_f64 v[44:45], v[124:125], v[44:45], v[110:111]
	v_fma_f64 v[46:47], v[124:125], v[46:47], -v[64:65]
	s_delay_alu instid0(VALU_DEP_4) | instskip(NEXT) | instid1(VALU_DEP_4)
	v_add_co_u32 v64, vcc_lo, v70, s12
	v_add_co_ci_u32_e32 v65, vcc_lo, s7, v71, vcc_lo
	s_delay_alu instid0(VALU_DEP_2) | instskip(NEXT) | instid1(VALU_DEP_2)
	v_add_co_u32 v78, vcc_lo, v64, s9
	v_add_co_ci_u32_e32 v79, vcc_lo, s8, v65, vcc_lo
	s_delay_alu instid0(VALU_DEP_2) | instskip(NEXT) | instid1(VALU_DEP_2)
	v_add_co_u32 v76, vcc_lo, v78, s12
	v_add_co_ci_u32_e32 v77, vcc_lo, s7, v79, vcc_lo
	s_waitcnt vmcnt(2)
	v_mul_f64 v[99:100], v[128:129], v[52:53]
	v_mul_f64 v[95:96], v[128:129], v[54:55]
	s_waitcnt vmcnt(1) lgkmcnt(2)
	v_mul_f64 v[24:25], v[92:93], v[62:63]
	s_waitcnt vmcnt(0) lgkmcnt(1)
	v_mul_f64 v[36:37], v[84:85], v[2:3]
	v_mul_f64 v[38:39], v[84:85], v[0:1]
	scratch_load_b128 v[84:87], off, off offset:32 ; 16-byte Folded Reload
	v_mul_f64 v[26:27], v[92:93], v[60:61]
	v_fma_f64 v[54:55], v[126:127], v[54:55], -v[99:100]
	v_fma_f64 v[52:53], v[126:127], v[52:53], v[95:96]
	v_fma_f64 v[24:25], v[90:91], v[60:61], v[24:25]
	s_delay_alu instid0(VALU_DEP_4)
	v_fma_f64 v[26:27], v[90:91], v[62:63], -v[26:27]
	s_waitcnt vmcnt(0)
	v_mul_f64 v[66:67], v[86:87], v[22:23]
	v_mul_f64 v[68:69], v[86:87], v[20:21]
	scratch_load_b128 v[86:89], off, off offset:64 ; 16-byte Folded Reload
	global_store_b128 v[101:102], v[28:31], off
	global_store_b128 v[70:71], v[32:35], off
	;; [unrolled: 1-line block ×5, first 2 shown]
	v_mul_f64 v[10:11], v[18:19], s[0:1]
	v_mul_f64 v[18:19], v[54:55], s[0:1]
	scratch_load_b32 v54, off, off offset:8 ; 4-byte Folded Reload
	v_mul_f64 v[12:13], v[56:57], s[0:1]
	scratch_load_b32 v56, off, off offset:12 ; 4-byte Folded Reload
	v_fma_f64 v[28:29], v[82:83], v[0:1], v[36:37]
	v_fma_f64 v[30:31], v[82:83], v[2:3], -v[38:39]
	v_add_co_u32 v36, vcc_lo, v76, s9
	v_mul_f64 v[8:9], v[16:17], s[0:1]
	v_add_co_ci_u32_e32 v37, vcc_lo, s8, v77, vcc_lo
	v_mul_f64 v[0:1], v[44:45], s[0:1]
	v_mul_f64 v[2:3], v[46:47], s[0:1]
	v_add_co_u32 v42, vcc_lo, v36, s12
	s_delay_alu instid0(VALU_DEP_4) | instskip(SKIP_1) | instid1(VALU_DEP_3)
	v_add_co_ci_u32_e32 v43, vcc_lo, s7, v37, vcc_lo
	v_mul_f64 v[14:15], v[58:59], s[0:1]
	v_add_co_u32 v44, vcc_lo, v42, s9
	s_delay_alu instid0(VALU_DEP_3) | instskip(SKIP_1) | instid1(VALU_DEP_3)
	v_add_co_ci_u32_e32 v45, vcc_lo, s8, v43, vcc_lo
	v_mul_f64 v[16:17], v[52:53], s[0:1]
	v_add_co_u32 v46, vcc_lo, v44, s12
	s_delay_alu instid0(VALU_DEP_3)
	v_add_co_ci_u32_e32 v47, vcc_lo, s7, v45, vcc_lo
	v_fma_f64 v[32:33], v[84:85], v[20:21], v[66:67]
	v_fma_f64 v[34:35], v[84:85], v[22:23], -v[68:69]
	v_mul_f64 v[20:21], v[24:25], s[0:1]
	v_mul_f64 v[22:23], v[26:27], s[0:1]
	;; [unrolled: 1-line block ×6, first 2 shown]
	s_waitcnt vmcnt(2) lgkmcnt(0)
	v_mul_f64 v[72:73], v[88:89], v[6:7]
	v_mul_f64 v[74:75], v[88:89], v[4:5]
	s_waitcnt vmcnt(0)
	v_mad_u64_u32 v[52:53], null, s4, v56, 0
	s_delay_alu instid0(VALU_DEP_3) | instskip(NEXT) | instid1(VALU_DEP_3)
	v_fma_f64 v[38:39], v[86:87], v[4:5], v[72:73]
	v_fma_f64 v[40:41], v[86:87], v[6:7], -v[74:75]
	v_mul_f64 v[4:5], v[48:49], s[0:1]
	v_mul_f64 v[6:7], v[50:51], s[0:1]
	v_mad_u64_u32 v[48:49], null, s4, v54, 0
	v_add_co_u32 v50, vcc_lo, v46, s9
	v_add_co_ci_u32_e32 v51, vcc_lo, s8, v47, vcc_lo
	global_store_b128 v[36:37], v[8:11], off
	global_store_b128 v[42:43], v[0:3], off
	;; [unrolled: 1-line block ×3, first 2 shown]
	v_mul_f64 v[32:33], v[38:39], s[0:1]
	v_mul_f64 v[34:35], v[40:41], s[0:1]
	v_add_co_u32 v38, vcc_lo, v50, s12
	v_mad_u64_u32 v[40:41], null, s5, v54, v[49:50]
	v_add_co_ci_u32_e32 v39, vcc_lo, s7, v51, vcc_lo
	v_mad_u64_u32 v[54:55], null, s5, v56, v[53:54]
	global_store_b128 v[46:47], v[12:15], off
	v_mad_u64_u32 v[55:56], null, 0x4600, s4, v[38:39]
	v_mov_b32_e32 v49, v40
	global_store_b128 v[50:51], v[16:19], off
	v_mov_b32_e32 v53, v54
	v_lshlrev_b64 v[1:2], 4, v[48:49]
	v_mov_b32_e32 v0, v56
	s_delay_alu instid0(VALU_DEP_3) | instskip(NEXT) | instid1(VALU_DEP_2)
	v_lshlrev_b64 v[3:4], 4, v[52:53]
	v_mad_u64_u32 v[5:6], null, 0x4600, s5, v[0:1]
	v_add_co_u32 v0, vcc_lo, v116, v1
	v_add_co_ci_u32_e32 v1, vcc_lo, v117, v2, vcc_lo
	s_delay_alu instid0(VALU_DEP_4)
	v_add_co_u32 v2, vcc_lo, v116, v3
	v_add_co_ci_u32_e32 v3, vcc_lo, v117, v4, vcc_lo
	v_mov_b32_e32 v56, v5
	global_store_b128 v[38:39], v[20:23], off
	s_clause 0x1
	global_store_b128 v[0:1], v[24:27], off
	global_store_b128 v[2:3], v[28:31], off
	;; [unrolled: 1-line block ×3, first 2 shown]
.LBB0_10:
	s_nop 0
	s_sendmsg sendmsg(MSG_DEALLOC_VGPRS)
	s_endpgm
	.section	.rodata,"a",@progbits
	.p2align	6, 0x0
	.amdhsa_kernel bluestein_single_fwd_len2016_dim1_dp_op_CI_CI
		.amdhsa_group_segment_fixed_size 64512
		.amdhsa_private_segment_fixed_size 724
		.amdhsa_kernarg_size 104
		.amdhsa_user_sgpr_count 15
		.amdhsa_user_sgpr_dispatch_ptr 0
		.amdhsa_user_sgpr_queue_ptr 0
		.amdhsa_user_sgpr_kernarg_segment_ptr 1
		.amdhsa_user_sgpr_dispatch_id 0
		.amdhsa_user_sgpr_private_segment_size 0
		.amdhsa_wavefront_size32 1
		.amdhsa_uses_dynamic_stack 0
		.amdhsa_enable_private_segment 1
		.amdhsa_system_sgpr_workgroup_id_x 1
		.amdhsa_system_sgpr_workgroup_id_y 0
		.amdhsa_system_sgpr_workgroup_id_z 0
		.amdhsa_system_sgpr_workgroup_info 0
		.amdhsa_system_vgpr_workitem_id 0
		.amdhsa_next_free_vgpr 256
		.amdhsa_next_free_sgpr 28
		.amdhsa_reserve_vcc 1
		.amdhsa_float_round_mode_32 0
		.amdhsa_float_round_mode_16_64 0
		.amdhsa_float_denorm_mode_32 3
		.amdhsa_float_denorm_mode_16_64 3
		.amdhsa_dx10_clamp 1
		.amdhsa_ieee_mode 1
		.amdhsa_fp16_overflow 0
		.amdhsa_workgroup_processor_mode 1
		.amdhsa_memory_ordered 1
		.amdhsa_forward_progress 0
		.amdhsa_shared_vgpr_count 0
		.amdhsa_exception_fp_ieee_invalid_op 0
		.amdhsa_exception_fp_denorm_src 0
		.amdhsa_exception_fp_ieee_div_zero 0
		.amdhsa_exception_fp_ieee_overflow 0
		.amdhsa_exception_fp_ieee_underflow 0
		.amdhsa_exception_fp_ieee_inexact 0
		.amdhsa_exception_int_div_zero 0
	.end_amdhsa_kernel
	.text
.Lfunc_end0:
	.size	bluestein_single_fwd_len2016_dim1_dp_op_CI_CI, .Lfunc_end0-bluestein_single_fwd_len2016_dim1_dp_op_CI_CI
                                        ; -- End function
	.section	.AMDGPU.csdata,"",@progbits
; Kernel info:
; codeLenInByte = 31124
; NumSgprs: 30
; NumVgprs: 256
; ScratchSize: 724
; MemoryBound: 0
; FloatMode: 240
; IeeeMode: 1
; LDSByteSize: 64512 bytes/workgroup (compile time only)
; SGPRBlocks: 3
; VGPRBlocks: 31
; NumSGPRsForWavesPerEU: 30
; NumVGPRsForWavesPerEU: 256
; Occupancy: 4
; WaveLimiterHint : 1
; COMPUTE_PGM_RSRC2:SCRATCH_EN: 1
; COMPUTE_PGM_RSRC2:USER_SGPR: 15
; COMPUTE_PGM_RSRC2:TRAP_HANDLER: 0
; COMPUTE_PGM_RSRC2:TGID_X_EN: 1
; COMPUTE_PGM_RSRC2:TGID_Y_EN: 0
; COMPUTE_PGM_RSRC2:TGID_Z_EN: 0
; COMPUTE_PGM_RSRC2:TIDIG_COMP_CNT: 0
	.text
	.p2alignl 7, 3214868480
	.fill 96, 4, 3214868480
	.type	__hip_cuid_f9b38d253ae9cf1a,@object ; @__hip_cuid_f9b38d253ae9cf1a
	.section	.bss,"aw",@nobits
	.globl	__hip_cuid_f9b38d253ae9cf1a
__hip_cuid_f9b38d253ae9cf1a:
	.byte	0                               ; 0x0
	.size	__hip_cuid_f9b38d253ae9cf1a, 1

	.ident	"AMD clang version 19.0.0git (https://github.com/RadeonOpenCompute/llvm-project roc-6.4.0 25133 c7fe45cf4b819c5991fe208aaa96edf142730f1d)"
	.section	".note.GNU-stack","",@progbits
	.addrsig
	.addrsig_sym __hip_cuid_f9b38d253ae9cf1a
	.amdgpu_metadata
---
amdhsa.kernels:
  - .args:
      - .actual_access:  read_only
        .address_space:  global
        .offset:         0
        .size:           8
        .value_kind:     global_buffer
      - .actual_access:  read_only
        .address_space:  global
        .offset:         8
        .size:           8
        .value_kind:     global_buffer
      - .actual_access:  read_only
        .address_space:  global
        .offset:         16
        .size:           8
        .value_kind:     global_buffer
      - .actual_access:  read_only
        .address_space:  global
        .offset:         24
        .size:           8
        .value_kind:     global_buffer
      - .actual_access:  read_only
        .address_space:  global
        .offset:         32
        .size:           8
        .value_kind:     global_buffer
      - .offset:         40
        .size:           8
        .value_kind:     by_value
      - .address_space:  global
        .offset:         48
        .size:           8
        .value_kind:     global_buffer
      - .address_space:  global
        .offset:         56
        .size:           8
        .value_kind:     global_buffer
      - .address_space:  global
        .offset:         64
        .size:           8
        .value_kind:     global_buffer
      - .address_space:  global
        .offset:         72
        .size:           8
        .value_kind:     global_buffer
      - .offset:         80
        .size:           4
        .value_kind:     by_value
      - .address_space:  global
        .offset:         88
        .size:           8
        .value_kind:     global_buffer
      - .address_space:  global
        .offset:         96
        .size:           8
        .value_kind:     global_buffer
    .group_segment_fixed_size: 64512
    .kernarg_segment_align: 8
    .kernarg_segment_size: 104
    .language:       OpenCL C
    .language_version:
      - 2
      - 0
    .max_flat_workgroup_size: 224
    .name:           bluestein_single_fwd_len2016_dim1_dp_op_CI_CI
    .private_segment_fixed_size: 724
    .sgpr_count:     30
    .sgpr_spill_count: 0
    .symbol:         bluestein_single_fwd_len2016_dim1_dp_op_CI_CI.kd
    .uniform_work_group_size: 1
    .uses_dynamic_stack: false
    .vgpr_count:     256
    .vgpr_spill_count: 180
    .wavefront_size: 32
    .workgroup_processor_mode: 1
amdhsa.target:   amdgcn-amd-amdhsa--gfx1100
amdhsa.version:
  - 1
  - 2
...

	.end_amdgpu_metadata
